;; amdgpu-corpus repo=ROCm/rocFFT kind=compiled arch=gfx90a opt=O3
	.text
	.amdgcn_target "amdgcn-amd-amdhsa--gfx90a"
	.amdhsa_code_object_version 6
	.protected	bluestein_single_fwd_len3750_dim1_dp_op_CI_CI ; -- Begin function bluestein_single_fwd_len3750_dim1_dp_op_CI_CI
	.globl	bluestein_single_fwd_len3750_dim1_dp_op_CI_CI
	.p2align	8
	.type	bluestein_single_fwd_len3750_dim1_dp_op_CI_CI,@function
bluestein_single_fwd_len3750_dim1_dp_op_CI_CI: ; @bluestein_single_fwd_len3750_dim1_dp_op_CI_CI
; %bb.0:
	s_load_dwordx4 s[12:15], s[4:5], 0x28
	s_mov_b64 s[30:31], s[2:3]
	s_mov_b64 s[28:29], s[0:1]
	v_mul_u32_u24_e32 v1, 0x20d, v0
	s_add_u32 s28, s28, s7
	v_add_u32_sdwa v2, s6, v1 dst_sel:DWORD dst_unused:UNUSED_PAD src0_sel:DWORD src1_sel:WORD_1
	v_mov_b32_e32 v3, 0
	s_addc_u32 s29, s29, 0
	s_waitcnt lgkmcnt(0)
	v_cmp_gt_u64_e32 vcc, s[12:13], v[2:3]
	s_and_saveexec_b64 s[0:1], vcc
	s_cbranch_execz .LBB0_2
; %bb.1:
	s_movk_i32 s16, 0x7d
	s_load_dwordx4 s[8:11], s[4:5], 0x0
	s_load_dwordx4 s[20:23], s[4:5], 0x18
	s_load_dwordx2 s[12:13], s[4:5], 0x38
	v_mul_lo_u16_sdwa v1, v1, s16 dst_sel:DWORD dst_unused:UNUSED_PAD src0_sel:WORD_1 src1_sel:DWORD
	v_sub_u16_e32 v207, v0, v1
	v_lshlrev_b32_e32 v189, 4, v207
	s_waitcnt lgkmcnt(0)
	global_load_dwordx4 v[10:13], v189, s[8:9]
	s_load_dwordx4 s[0:3], s[22:23], 0x0
	v_mov_b32_e32 v188, 0x4e20
	v_mov_b32_e32 v20, 0xffff6b90
	s_movk_i32 s26, 0x2000
	s_mov_b32 s19, 0xbfebb67a
	s_waitcnt lgkmcnt(0)
	v_mad_u64_u32 v[4:5], s[4:5], s2, v2, 0
	s_load_dwordx4 s[4:7], s[20:21], 0x0
	v_mov_b32_e32 v0, v5
	v_mad_u64_u32 v[0:1], s[2:3], s3, v2, v[0:1]
	v_mov_b32_e32 v5, v0
	v_accvgpr_write_b32 a233, v5
	s_waitcnt lgkmcnt(0)
	v_mad_u64_u32 v[0:1], s[2:3], s6, v2, 0
	v_accvgpr_write_b32 a232, v4
	v_mov_b32_e32 v4, v1
	v_mad_u64_u32 v[2:3], s[2:3], s7, v2, v[4:5]
	v_mov_b32_e32 v1, v2
	v_mad_u64_u32 v[2:3], s[2:3], s4, v207, 0
	;; [unrolled: 2-line block ×3, first 2 shown]
	v_lshlrev_b64 v[0:1], 4, v[0:1]
	v_mov_b32_e32 v3, v4
	v_add_co_u32_e32 v4, vcc, s14, v0
	v_mov_b32_e32 v0, s15
	v_addc_co_u32_e32 v5, vcc, v0, v1, vcc
	v_lshlrev_b64 v[0:1], 4, v[2:3]
	v_add_co_u32_e32 v8, vcc, v4, v0
	v_addc_co_u32_e32 v9, vcc, v5, v1, vcc
	global_load_dwordx4 v[0:3], v[8:9], off
	v_add_co_u32_e32 v212, vcc, s8, v189
	v_mov_b32_e32 v4, s9
	v_addc_co_u32_e32 v213, vcc, 0, v4, vcc
	v_add_u32_e32 v132, 0x2ee, v207
	v_add_u32_e32 v133, 0x36b, v207
	;; [unrolled: 1-line block ×4, first 2 shown]
	s_mov_b32 s15, 0xbfee6f0e
                                        ; kill: killed $sgpr8_sgpr9
	s_movk_i32 s20, 0x89
	s_movk_i32 s21, 0xdb
	s_mov_b32 s23, 0xbfd3c6ef
	s_mov_b32 s24, 0x9b97f4a8
	;; [unrolled: 1-line block ×3, first 2 shown]
	s_movk_i32 s27, 0x2ee
	s_waitcnt vmcnt(1)
	buffer_store_dword v10, off, s[28:31], 0 offset:40 ; 4-byte Folded Spill
	s_nop 0
	buffer_store_dword v11, off, s[28:31], 0 offset:44 ; 4-byte Folded Spill
	s_waitcnt vmcnt(2)
	v_mul_f64 v[4:5], v[2:3], v[12:13]
	v_fmac_f64_e32 v[4:5], v[0:1], v[10:11]
	v_mul_f64 v[0:1], v[0:1], v[12:13]
	v_accvgpr_write_b32 a26, v13            ;  Reload Reuse
	v_fma_f64 v[6:7], v[2:3], v[10:11], -v[0:1]
	v_mad_u64_u32 v[10:11], s[2:3], s4, v188, v[8:9]
	s_movk_i32 s3, 0x4000
	v_add_co_u32_e32 v0, vcc, s3, v212
	v_addc_co_u32_e32 v1, vcc, 0, v213, vcc
	v_accvgpr_write_b32 a27, v12            ;  Reload Reuse
	global_load_dwordx4 v[12:15], v[0:1], off offset:3616
	s_mul_i32 s2, s5, 0x4e20
	v_add_u32_e32 v11, s2, v11
	ds_write_b128 v189, v[4:7]
	global_load_dwordx4 v[2:5], v[10:11], off
	s_mov_b32 s3, 0x9000
	s_waitcnt vmcnt(1)
	buffer_store_dword v12, off, s[28:31], 0 offset:56 ; 4-byte Folded Spill
	s_nop 0
	buffer_store_dword v13, off, s[28:31], 0 offset:60 ; 4-byte Folded Spill
	buffer_store_dword v14, off, s[28:31], 0 offset:64 ; 4-byte Folded Spill
	;; [unrolled: 1-line block ×3, first 2 shown]
	s_waitcnt vmcnt(4)
	v_mul_f64 v[6:7], v[4:5], v[14:15]
	v_fmac_f64_e32 v[6:7], v[2:3], v[12:13]
	v_mul_f64 v[2:3], v[2:3], v[14:15]
	v_fma_f64 v[8:9], v[4:5], v[12:13], -v[2:3]
	v_add_co_u32_e32 v4, vcc, s3, v212
	v_addc_co_u32_e32 v5, vcc, 0, v213, vcc
	global_load_dwordx4 v[12:15], v[4:5], off offset:3136
	v_mad_u64_u32 v[2:3], s[6:7], s4, v188, v[10:11]
	v_add_u32_e32 v3, s2, v3
	ds_write_b128 v189, v[6:9] offset:20000
	global_load_dwordx4 v[6:9], v[2:3], off
	s_mul_i32 s3, s5, 0xffff6b90
	s_sub_i32 s3, s3, s4
	v_add_co_u32_e32 v190, vcc, s16, v207
	s_movk_i32 s5, 0x5000
	s_mov_b32 s16, 0xe8584caa
	s_mov_b32 s17, 0x3febb67a
	;; [unrolled: 1-line block ×3, first 2 shown]
	s_waitcnt vmcnt(1)
	buffer_store_dword v12, off, s[28:31], 0 offset:72 ; 4-byte Folded Spill
	s_nop 0
	buffer_store_dword v13, off, s[28:31], 0 offset:76 ; 4-byte Folded Spill
	buffer_store_dword v14, off, s[28:31], 0 offset:80 ; 4-byte Folded Spill
	;; [unrolled: 1-line block ×3, first 2 shown]
	s_waitcnt vmcnt(4)
	v_mul_f64 v[10:11], v[8:9], v[14:15]
	v_fmac_f64_e32 v[10:11], v[6:7], v[12:13]
	v_mul_f64 v[6:7], v[6:7], v[14:15]
	v_fma_f64 v[12:13], v[8:9], v[12:13], -v[6:7]
	v_mov_b32_e32 v6, 0xffff6b90
	v_mad_u64_u32 v[2:3], s[6:7], s4, v6, v[2:3]
	ds_write_b128 v189, v[10:13] offset:40000
	v_add_u32_e32 v3, s3, v3
	global_load_dwordx4 v[6:9], v[2:3], off
	global_load_dwordx4 v[12:15], v189, s[8:9] offset:2000
	v_mad_u64_u32 v[2:3], s[6:7], s4, v188, v[2:3]
	v_add_u32_e32 v3, s2, v3
	s_waitcnt vmcnt(0)
	buffer_store_dword v12, off, s[28:31], 0 offset:88 ; 4-byte Folded Spill
	s_nop 0
	buffer_store_dword v13, off, s[28:31], 0 offset:92 ; 4-byte Folded Spill
	buffer_store_dword v14, off, s[28:31], 0 offset:96 ; 4-byte Folded Spill
	;; [unrolled: 1-line block ×3, first 2 shown]
	v_mul_f64 v[10:11], v[8:9], v[14:15]
	v_fmac_f64_e32 v[10:11], v[6:7], v[12:13]
	v_mul_f64 v[6:7], v[6:7], v[14:15]
	v_add_co_u32_e32 v14, vcc, s5, v212
	v_addc_co_u32_e32 v15, vcc, 0, v213, vcc
	global_load_dwordx4 v[16:19], v[14:15], off offset:1520
	v_fma_f64 v[12:13], v[8:9], v[12:13], -v[6:7]
	global_load_dwordx4 v[6:9], v[2:3], off
	ds_write_b128 v189, v[10:13] offset:2000
	s_mov_b32 s5, 0xa000
	v_mad_u64_u32 v[2:3], s[6:7], s4, v188, v[2:3]
	v_add_u32_e32 v3, s2, v3
                                        ; kill: killed $vgpr14 killed $vgpr15
	s_waitcnt vmcnt(1)
	buffer_store_dword v16, off, s[28:31], 0 offset:104 ; 4-byte Folded Spill
	s_nop 0
	buffer_store_dword v17, off, s[28:31], 0 offset:108 ; 4-byte Folded Spill
	buffer_store_dword v18, off, s[28:31], 0 offset:112 ; 4-byte Folded Spill
	buffer_store_dword v19, off, s[28:31], 0 offset:116 ; 4-byte Folded Spill
	s_waitcnt vmcnt(4)
	v_mul_f64 v[10:11], v[8:9], v[18:19]
	v_fmac_f64_e32 v[10:11], v[6:7], v[16:17]
	v_mul_f64 v[6:7], v[6:7], v[18:19]
	v_fma_f64 v[12:13], v[8:9], v[16:17], -v[6:7]
	v_add_co_u32_e32 v16, vcc, s5, v212
	v_addc_co_u32_e32 v17, vcc, 0, v213, vcc
	global_load_dwordx4 v[22:25], v[16:17], off offset:1040
	global_load_dwordx4 v[6:9], v[2:3], off
	ds_write_b128 v189, v[10:13] offset:22000
	v_mad_u64_u32 v[2:3], s[6:7], s4, v20, v[2:3]
	v_add_u32_e32 v3, s3, v3
	s_movk_i32 s5, 0xfa
	v_add_co_u32_e32 v191, vcc, s5, v207
	s_movk_i32 s5, 0x177
	v_add_co_u32_e32 v192, vcc, s5, v207
	s_movk_i32 s5, 0x1000
                                        ; kill: killed $vgpr16 killed $vgpr17
	s_waitcnt vmcnt(1)
	buffer_store_dword v22, off, s[28:31], 0 offset:120 ; 4-byte Folded Spill
	s_nop 0
	buffer_store_dword v23, off, s[28:31], 0 offset:124 ; 4-byte Folded Spill
	buffer_store_dword v24, off, s[28:31], 0 offset:128 ; 4-byte Folded Spill
	;; [unrolled: 1-line block ×3, first 2 shown]
	s_waitcnt vmcnt(4)
	v_mul_f64 v[10:11], v[8:9], v[24:25]
	v_fmac_f64_e32 v[10:11], v[6:7], v[22:23]
	v_mul_f64 v[6:7], v[6:7], v[24:25]
	v_fma_f64 v[12:13], v[8:9], v[22:23], -v[6:7]
	ds_write_b128 v189, v[10:13] offset:42000
	global_load_dwordx4 v[6:9], v[2:3], off
	global_load_dwordx4 v[22:25], v189, s[8:9] offset:4000
	v_mad_u64_u32 v[2:3], s[6:7], s4, v188, v[2:3]
	v_add_u32_e32 v3, s2, v3
	s_mov_b32 s9, 0xbfe2cf23
	s_waitcnt vmcnt(0)
	buffer_store_dword v22, off, s[28:31], 0 offset:136 ; 4-byte Folded Spill
	s_nop 0
	buffer_store_dword v23, off, s[28:31], 0 offset:140 ; 4-byte Folded Spill
	buffer_store_dword v24, off, s[28:31], 0 offset:144 ; 4-byte Folded Spill
	;; [unrolled: 1-line block ×3, first 2 shown]
	v_mul_f64 v[10:11], v[8:9], v[24:25]
	v_fmac_f64_e32 v[10:11], v[6:7], v[22:23]
	v_mul_f64 v[6:7], v[6:7], v[24:25]
	v_fma_f64 v[12:13], v[8:9], v[22:23], -v[6:7]
	ds_write_b128 v189, v[10:13] offset:4000
	global_load_dwordx4 v[6:9], v[2:3], off
	global_load_dwordx4 v[22:25], v[14:15], off offset:3520
	v_mad_u64_u32 v[2:3], s[6:7], s4, v188, v[2:3]
	v_add_u32_e32 v3, s2, v3
	s_waitcnt vmcnt(0)
	buffer_store_dword v22, off, s[28:31], 0 offset:152 ; 4-byte Folded Spill
	s_nop 0
	buffer_store_dword v23, off, s[28:31], 0 offset:156 ; 4-byte Folded Spill
	buffer_store_dword v24, off, s[28:31], 0 offset:160 ; 4-byte Folded Spill
	;; [unrolled: 1-line block ×3, first 2 shown]
	v_mul_f64 v[10:11], v[8:9], v[24:25]
	v_fmac_f64_e32 v[10:11], v[6:7], v[22:23]
	v_mul_f64 v[6:7], v[6:7], v[24:25]
	v_fma_f64 v[12:13], v[8:9], v[22:23], -v[6:7]
	ds_write_b128 v189, v[10:13] offset:24000
	global_load_dwordx4 v[6:9], v[2:3], off
	global_load_dwordx4 v[12:15], v[16:17], off offset:3040
	v_mad_u64_u32 v[2:3], s[6:7], s4, v20, v[2:3]
	v_add_u32_e32 v3, s3, v3
	s_waitcnt vmcnt(0)
	buffer_store_dword v12, off, s[28:31], 0 offset:184 ; 4-byte Folded Spill
	s_nop 0
	buffer_store_dword v13, off, s[28:31], 0 offset:188 ; 4-byte Folded Spill
	buffer_store_dword v14, off, s[28:31], 0 offset:192 ; 4-byte Folded Spill
	;; [unrolled: 1-line block ×3, first 2 shown]
	v_mul_f64 v[10:11], v[8:9], v[14:15]
	v_fmac_f64_e32 v[10:11], v[6:7], v[12:13]
	v_mul_f64 v[6:7], v[6:7], v[14:15]
	v_add_co_u32_e32 v14, vcc, s5, v212
	v_addc_co_u32_e32 v15, vcc, 0, v213, vcc
	global_load_dwordx4 v[16:19], v[14:15], off offset:1904
	v_fma_f64 v[12:13], v[8:9], v[12:13], -v[6:7]
	global_load_dwordx4 v[6:9], v[2:3], off
	ds_write_b128 v189, v[10:13] offset:44000
	s_movk_i32 s5, 0x6000
	v_mad_u64_u32 v[2:3], s[6:7], s4, v188, v[2:3]
	v_add_u32_e32 v3, s2, v3
                                        ; kill: killed $vgpr14 killed $vgpr15
	s_waitcnt vmcnt(1)
	buffer_store_dword v16, off, s[28:31], 0 offset:200 ; 4-byte Folded Spill
	s_nop 0
	buffer_store_dword v17, off, s[28:31], 0 offset:204 ; 4-byte Folded Spill
	buffer_store_dword v18, off, s[28:31], 0 offset:208 ; 4-byte Folded Spill
	;; [unrolled: 1-line block ×3, first 2 shown]
	s_waitcnt vmcnt(4)
	v_mul_f64 v[10:11], v[8:9], v[18:19]
	v_fmac_f64_e32 v[10:11], v[6:7], v[16:17]
	v_mul_f64 v[6:7], v[6:7], v[18:19]
	v_fma_f64 v[12:13], v[8:9], v[16:17], -v[6:7]
	v_add_co_u32_e32 v16, vcc, s5, v212
	v_addc_co_u32_e32 v17, vcc, 0, v213, vcc
	global_load_dwordx4 v[22:25], v[16:17], off offset:1424
	global_load_dwordx4 v[6:9], v[2:3], off
	ds_write_b128 v189, v[10:13] offset:6000
	s_mov_b32 s5, 0xb000
	v_add_co_u32_e32 v18, vcc, s5, v212
	v_addc_co_u32_e32 v19, vcc, 0, v213, vcc
	v_mad_u64_u32 v[2:3], s[6:7], s4, v188, v[2:3]
	v_add_u32_e32 v3, s2, v3
	s_movk_i32 s5, 0x1f4
	v_add_co_u32_e32 v214, vcc, s5, v207
	s_movk_i32 s5, 0x271
	v_add_co_u32_e32 v215, vcc, s5, v207
                                        ; kill: killed $vgpr16 killed $vgpr17
                                        ; kill: killed $vgpr18 killed $vgpr19
	s_movk_i32 s5, 0x7000
	s_waitcnt vmcnt(1)
	buffer_store_dword v22, off, s[28:31], 0 offset:216 ; 4-byte Folded Spill
	s_nop 0
	buffer_store_dword v23, off, s[28:31], 0 offset:220 ; 4-byte Folded Spill
	buffer_store_dword v24, off, s[28:31], 0 offset:224 ; 4-byte Folded Spill
	;; [unrolled: 1-line block ×3, first 2 shown]
	s_waitcnt vmcnt(4)
	v_mul_f64 v[10:11], v[8:9], v[24:25]
	v_fmac_f64_e32 v[10:11], v[6:7], v[22:23]
	v_mul_f64 v[6:7], v[6:7], v[24:25]
	v_fma_f64 v[12:13], v[8:9], v[22:23], -v[6:7]
	global_load_dwordx4 v[22:25], v[18:19], off offset:944
	global_load_dwordx4 v[6:9], v[2:3], off
	ds_write_b128 v189, v[10:13] offset:26000
	v_mad_u64_u32 v[2:3], s[6:7], s4, v20, v[2:3]
	v_add_u32_e32 v3, s3, v3
	s_waitcnt vmcnt(1)
	buffer_store_dword v22, off, s[28:31], 0 offset:232 ; 4-byte Folded Spill
	s_nop 0
	buffer_store_dword v23, off, s[28:31], 0 offset:236 ; 4-byte Folded Spill
	buffer_store_dword v24, off, s[28:31], 0 offset:240 ; 4-byte Folded Spill
	buffer_store_dword v25, off, s[28:31], 0 offset:244 ; 4-byte Folded Spill
	s_waitcnt vmcnt(4)
	v_mul_f64 v[10:11], v[8:9], v[24:25]
	v_fmac_f64_e32 v[10:11], v[6:7], v[22:23]
	v_mul_f64 v[6:7], v[6:7], v[24:25]
	v_fma_f64 v[12:13], v[8:9], v[22:23], -v[6:7]
	ds_write_b128 v189, v[10:13] offset:46000
	global_load_dwordx4 v[6:9], v[2:3], off
	global_load_dwordx4 v[22:25], v[14:15], off offset:3904
	v_mad_u64_u32 v[2:3], s[6:7], s4, v188, v[2:3]
	v_add_u32_e32 v3, s2, v3
	s_waitcnt vmcnt(0)
	buffer_store_dword v22, off, s[28:31], 0 offset:248 ; 4-byte Folded Spill
	s_nop 0
	buffer_store_dword v23, off, s[28:31], 0 offset:252 ; 4-byte Folded Spill
	buffer_store_dword v24, off, s[28:31], 0 offset:256 ; 4-byte Folded Spill
	;; [unrolled: 1-line block ×3, first 2 shown]
	v_mul_f64 v[10:11], v[8:9], v[24:25]
	v_fmac_f64_e32 v[10:11], v[6:7], v[22:23]
	v_mul_f64 v[6:7], v[6:7], v[24:25]
	v_fma_f64 v[12:13], v[8:9], v[22:23], -v[6:7]
	ds_write_b128 v189, v[10:13] offset:8000
	global_load_dwordx4 v[6:9], v[2:3], off
	global_load_dwordx4 v[10:13], v[16:17], off offset:3424
	v_mad_u64_u32 v[2:3], s[6:7], s4, v188, v[2:3]
	v_add_u32_e32 v3, s2, v3
	s_waitcnt vmcnt(0)
	v_pk_mov_b32 v[14:15], v[12:13], v[12:13] op_sel:[0,1]
	v_pk_mov_b32 v[12:13], v[10:11], v[10:11] op_sel:[0,1]
	buffer_store_dword v12, off, s[28:31], 0 offset:300 ; 4-byte Folded Spill
	s_nop 0
	buffer_store_dword v13, off, s[28:31], 0 offset:304 ; 4-byte Folded Spill
	buffer_store_dword v14, off, s[28:31], 0 offset:308 ; 4-byte Folded Spill
	;; [unrolled: 1-line block ×3, first 2 shown]
	v_mul_f64 v[10:11], v[8:9], v[14:15]
	v_fmac_f64_e32 v[10:11], v[6:7], v[12:13]
	v_mul_f64 v[6:7], v[6:7], v[14:15]
	v_fma_f64 v[12:13], v[8:9], v[12:13], -v[6:7]
	ds_write_b128 v189, v[10:13] offset:28000
	global_load_dwordx4 v[6:9], v[2:3], off
	global_load_dwordx4 v[12:15], v[18:19], off offset:2944
	v_mad_u64_u32 v[2:3], s[6:7], s4, v20, v[2:3]
	v_add_u32_e32 v3, s3, v3
	s_waitcnt vmcnt(0)
	buffer_store_dword v12, off, s[28:31], 0 offset:264 ; 4-byte Folded Spill
	s_nop 0
	buffer_store_dword v13, off, s[28:31], 0 offset:268 ; 4-byte Folded Spill
	buffer_store_dword v14, off, s[28:31], 0 offset:272 ; 4-byte Folded Spill
	;; [unrolled: 1-line block ×3, first 2 shown]
	v_mul_f64 v[10:11], v[8:9], v[14:15]
	v_fmac_f64_e32 v[10:11], v[6:7], v[12:13]
	v_mul_f64 v[6:7], v[6:7], v[14:15]
	v_add_co_u32_e32 v14, vcc, s26, v212
	v_addc_co_u32_e32 v15, vcc, 0, v213, vcc
	global_load_dwordx4 v[16:19], v[14:15], off offset:1808
	v_fma_f64 v[12:13], v[8:9], v[12:13], -v[6:7]
	global_load_dwordx4 v[6:9], v[2:3], off
	ds_write_b128 v189, v[10:13] offset:48000
	v_mad_u64_u32 v[2:3], s[6:7], s4, v188, v[2:3]
	v_add_u32_e32 v3, s2, v3
                                        ; kill: killed $vgpr14 killed $vgpr15
	s_waitcnt vmcnt(1)
	buffer_store_dword v16, off, s[28:31], 0 offset:316 ; 4-byte Folded Spill
	s_nop 0
	buffer_store_dword v17, off, s[28:31], 0 offset:320 ; 4-byte Folded Spill
	buffer_store_dword v18, off, s[28:31], 0 offset:324 ; 4-byte Folded Spill
	;; [unrolled: 1-line block ×3, first 2 shown]
	s_waitcnt vmcnt(4)
	v_mul_f64 v[10:11], v[8:9], v[18:19]
	v_fmac_f64_e32 v[10:11], v[6:7], v[16:17]
	v_mul_f64 v[6:7], v[6:7], v[18:19]
	v_fma_f64 v[12:13], v[8:9], v[16:17], -v[6:7]
	v_add_co_u32_e32 v16, vcc, s5, v212
	v_addc_co_u32_e32 v17, vcc, 0, v213, vcc
	global_load_dwordx4 v[22:25], v[16:17], off offset:1328
	global_load_dwordx4 v[6:9], v[2:3], off
	ds_write_b128 v189, v[10:13] offset:10000
	s_mov_b32 s5, 0xc000
	v_add_co_u32_e32 v18, vcc, s5, v212
	v_addc_co_u32_e32 v19, vcc, 0, v213, vcc
	v_mad_u64_u32 v[2:3], s[6:7], s4, v188, v[2:3]
	v_add_u32_e32 v3, s2, v3
	s_movk_i32 s5, 0x3000
                                        ; kill: killed $vgpr16 killed $vgpr17
                                        ; kill: killed $vgpr18 killed $vgpr19
	s_waitcnt vmcnt(1)
	buffer_store_dword v22, off, s[28:31], 0 offset:332 ; 4-byte Folded Spill
	s_nop 0
	buffer_store_dword v23, off, s[28:31], 0 offset:336 ; 4-byte Folded Spill
	buffer_store_dword v24, off, s[28:31], 0 offset:340 ; 4-byte Folded Spill
	;; [unrolled: 1-line block ×3, first 2 shown]
	s_waitcnt vmcnt(4)
	v_mul_f64 v[10:11], v[8:9], v[24:25]
	v_fmac_f64_e32 v[10:11], v[6:7], v[22:23]
	v_mul_f64 v[6:7], v[6:7], v[24:25]
	v_fma_f64 v[12:13], v[8:9], v[22:23], -v[6:7]
	global_load_dwordx4 v[22:25], v[18:19], off offset:848
	global_load_dwordx4 v[6:9], v[2:3], off
	ds_write_b128 v189, v[10:13] offset:30000
	v_mad_u64_u32 v[2:3], s[6:7], s4, v20, v[2:3]
	v_add_u32_e32 v3, s3, v3
	s_waitcnt vmcnt(1)
	buffer_store_dword v22, off, s[28:31], 0 offset:348 ; 4-byte Folded Spill
	s_nop 0
	buffer_store_dword v23, off, s[28:31], 0 offset:352 ; 4-byte Folded Spill
	buffer_store_dword v24, off, s[28:31], 0 offset:356 ; 4-byte Folded Spill
	;; [unrolled: 1-line block ×3, first 2 shown]
	s_waitcnt vmcnt(4)
	v_mul_f64 v[10:11], v[8:9], v[24:25]
	v_fmac_f64_e32 v[10:11], v[6:7], v[22:23]
	v_mul_f64 v[6:7], v[6:7], v[24:25]
	v_fma_f64 v[12:13], v[8:9], v[22:23], -v[6:7]
	ds_write_b128 v189, v[10:13] offset:50000
	global_load_dwordx4 v[6:9], v[2:3], off
	global_load_dwordx4 v[22:25], v[14:15], off offset:3808
	v_mad_u64_u32 v[2:3], s[6:7], s4, v188, v[2:3]
	v_add_u32_e32 v3, s2, v3
	s_waitcnt vmcnt(0)
	buffer_store_dword v22, off, s[28:31], 0 offset:428 ; 4-byte Folded Spill
	s_nop 0
	buffer_store_dword v23, off, s[28:31], 0 offset:432 ; 4-byte Folded Spill
	buffer_store_dword v24, off, s[28:31], 0 offset:436 ; 4-byte Folded Spill
	buffer_store_dword v25, off, s[28:31], 0 offset:440 ; 4-byte Folded Spill
	v_mul_f64 v[10:11], v[8:9], v[24:25]
	v_fmac_f64_e32 v[10:11], v[6:7], v[22:23]
	v_mul_f64 v[6:7], v[6:7], v[24:25]
	v_fma_f64 v[12:13], v[8:9], v[22:23], -v[6:7]
	ds_write_b128 v189, v[10:13] offset:12000
	global_load_dwordx4 v[6:9], v[2:3], off
	global_load_dwordx4 v[12:15], v[16:17], off offset:3328
	v_mad_u64_u32 v[2:3], s[6:7], s4, v188, v[2:3]
	v_add_u32_e32 v3, s2, v3
	s_waitcnt vmcnt(0)
	buffer_store_dword v12, off, s[28:31], 0 offset:396 ; 4-byte Folded Spill
	s_nop 0
	buffer_store_dword v13, off, s[28:31], 0 offset:400 ; 4-byte Folded Spill
	buffer_store_dword v14, off, s[28:31], 0 offset:404 ; 4-byte Folded Spill
	buffer_store_dword v15, off, s[28:31], 0 offset:408 ; 4-byte Folded Spill
	;; [unrolled: 15-line block ×3, first 2 shown]
	v_mul_f64 v[10:11], v[8:9], v[14:15]
	v_fmac_f64_e32 v[10:11], v[6:7], v[12:13]
	v_mul_f64 v[6:7], v[6:7], v[14:15]
	v_add_co_u32_e32 v14, vcc, s5, v212
	v_addc_co_u32_e32 v15, vcc, 0, v213, vcc
	global_load_dwordx4 v[16:19], v[14:15], off offset:1712
	v_fma_f64 v[12:13], v[8:9], v[12:13], -v[6:7]
	global_load_dwordx4 v[6:9], v[2:3], off
	ds_write_b128 v189, v[10:13] offset:52000
	s_mov_b32 s5, 0x8000
	v_mad_u64_u32 v[2:3], s[6:7], s4, v188, v[2:3]
	v_add_u32_e32 v3, s2, v3
	s_waitcnt vmcnt(1)
	buffer_store_dword v16, off, s[28:31], 0 offset:444 ; 4-byte Folded Spill
	s_nop 0
	buffer_store_dword v17, off, s[28:31], 0 offset:448 ; 4-byte Folded Spill
	buffer_store_dword v18, off, s[28:31], 0 offset:452 ; 4-byte Folded Spill
	;; [unrolled: 1-line block ×3, first 2 shown]
	s_waitcnt vmcnt(4)
	v_mul_f64 v[10:11], v[8:9], v[18:19]
	v_fmac_f64_e32 v[10:11], v[6:7], v[16:17]
	v_mul_f64 v[6:7], v[6:7], v[18:19]
	v_fma_f64 v[12:13], v[8:9], v[16:17], -v[6:7]
	v_add_co_u32_e32 v16, vcc, s5, v212
	v_addc_co_u32_e32 v17, vcc, 0, v213, vcc
	global_load_dwordx4 v[22:25], v[16:17], off offset:1232
	global_load_dwordx4 v[6:9], v[2:3], off
	ds_write_b128 v189, v[10:13] offset:14000
	s_mov_b32 s5, 0xd000
	v_add_co_u32_e32 v18, vcc, s5, v212
	v_addc_co_u32_e32 v19, vcc, 0, v213, vcc
	v_mad_u64_u32 v[2:3], s[6:7], s4, v188, v[2:3]
	v_add_u32_e32 v3, s2, v3
	s_waitcnt vmcnt(1)
	buffer_store_dword v22, off, s[28:31], 0 offset:476 ; 4-byte Folded Spill
	s_nop 0
	buffer_store_dword v23, off, s[28:31], 0 offset:480 ; 4-byte Folded Spill
	buffer_store_dword v24, off, s[28:31], 0 offset:484 ; 4-byte Folded Spill
	;; [unrolled: 1-line block ×3, first 2 shown]
	s_waitcnt vmcnt(4)
	v_mul_f64 v[10:11], v[8:9], v[24:25]
	v_fmac_f64_e32 v[10:11], v[6:7], v[22:23]
	v_mul_f64 v[6:7], v[6:7], v[24:25]
	v_fma_f64 v[12:13], v[8:9], v[22:23], -v[6:7]
	global_load_dwordx4 v[22:25], v[18:19], off offset:752
	global_load_dwordx4 v[6:9], v[2:3], off
	ds_write_b128 v189, v[10:13] offset:34000
	v_mad_u64_u32 v[2:3], s[6:7], s4, v20, v[2:3]
	v_add_u32_e32 v3, s3, v3
	s_waitcnt vmcnt(1)
	buffer_store_dword v22, off, s[28:31], 0 offset:492 ; 4-byte Folded Spill
	s_nop 0
	buffer_store_dword v23, off, s[28:31], 0 offset:496 ; 4-byte Folded Spill
	buffer_store_dword v24, off, s[28:31], 0 offset:500 ; 4-byte Folded Spill
	;; [unrolled: 1-line block ×3, first 2 shown]
	s_waitcnt vmcnt(4)
	v_mul_f64 v[10:11], v[8:9], v[24:25]
	v_fmac_f64_e32 v[10:11], v[6:7], v[22:23]
	v_mul_f64 v[6:7], v[6:7], v[24:25]
	v_fma_f64 v[12:13], v[8:9], v[22:23], -v[6:7]
	ds_write_b128 v189, v[10:13] offset:54000
	global_load_dwordx4 v[6:9], v[2:3], off
	s_nop 0
	global_load_dwordx4 v[12:15], v[14:15], off offset:3712
	v_mad_u64_u32 v[2:3], s[6:7], s4, v188, v[2:3]
	v_add_u32_e32 v3, s2, v3
	s_waitcnt vmcnt(0)
	buffer_store_dword v12, off, s[28:31], 0 offset:508 ; 4-byte Folded Spill
	s_nop 0
	buffer_store_dword v13, off, s[28:31], 0 offset:512 ; 4-byte Folded Spill
	buffer_store_dword v14, off, s[28:31], 0 offset:516 ; 4-byte Folded Spill
	;; [unrolled: 1-line block ×3, first 2 shown]
	v_mul_f64 v[10:11], v[8:9], v[14:15]
	v_fmac_f64_e32 v[10:11], v[6:7], v[12:13]
	v_mul_f64 v[6:7], v[6:7], v[14:15]
	v_fma_f64 v[12:13], v[8:9], v[12:13], -v[6:7]
	ds_write_b128 v189, v[10:13] offset:16000
	global_load_dwordx4 v[6:9], v[2:3], off
	global_load_dwordx4 v[12:15], v[16:17], off offset:3232
	v_mad_u64_u32 v[2:3], s[6:7], s4, v188, v[2:3]
	v_add_u32_e32 v3, s2, v3
	s_waitcnt vmcnt(0)
	buffer_store_dword v12, off, s[28:31], 0 offset:460 ; 4-byte Folded Spill
	s_nop 0
	buffer_store_dword v13, off, s[28:31], 0 offset:464 ; 4-byte Folded Spill
	buffer_store_dword v14, off, s[28:31], 0 offset:468 ; 4-byte Folded Spill
	;; [unrolled: 1-line block ×3, first 2 shown]
	v_mul_f64 v[10:11], v[8:9], v[14:15]
	v_fmac_f64_e32 v[10:11], v[6:7], v[12:13]
	v_mul_f64 v[6:7], v[6:7], v[14:15]
	v_fma_f64 v[12:13], v[8:9], v[12:13], -v[6:7]
	ds_write_b128 v189, v[10:13] offset:36000
	global_load_dwordx4 v[6:9], v[2:3], off
	global_load_dwordx4 v[12:15], v[18:19], off offset:2752
	s_waitcnt vmcnt(0)
	buffer_store_dword v12, off, s[28:31], 0 offset:412 ; 4-byte Folded Spill
	s_nop 0
	buffer_store_dword v13, off, s[28:31], 0 offset:416 ; 4-byte Folded Spill
	buffer_store_dword v14, off, s[28:31], 0 offset:420 ; 4-byte Folded Spill
	;; [unrolled: 1-line block ×3, first 2 shown]
	v_mul_f64 v[10:11], v[8:9], v[14:15]
	v_fmac_f64_e32 v[10:11], v[6:7], v[12:13]
	v_mul_f64 v[6:7], v[6:7], v[14:15]
	v_fma_f64 v[12:13], v[8:9], v[12:13], -v[6:7]
	ds_write_b128 v189, v[10:13] offset:56000
	v_mad_u64_u32 v[10:11], s[6:7], s4, v20, v[2:3]
	v_add_u32_e32 v11, s3, v11
	global_load_dwordx4 v[6:9], v[10:11], off
	global_load_dwordx4 v[12:15], v[0:1], off offset:1616
	s_waitcnt vmcnt(0)
	buffer_store_dword v12, off, s[28:31], 0 offset:380 ; 4-byte Folded Spill
	s_nop 0
	buffer_store_dword v13, off, s[28:31], 0 offset:384 ; 4-byte Folded Spill
	buffer_store_dword v14, off, s[28:31], 0 offset:388 ; 4-byte Folded Spill
	buffer_store_dword v15, off, s[28:31], 0 offset:392 ; 4-byte Folded Spill
	v_mul_f64 v[0:1], v[8:9], v[14:15]
	v_mul_f64 v[2:3], v[6:7], v[14:15]
	v_fmac_f64_e32 v[0:1], v[6:7], v[12:13]
	v_fma_f64 v[2:3], v[8:9], v[12:13], -v[2:3]
	v_mad_u64_u32 v[6:7], s[6:7], s4, v188, v[10:11]
	ds_write_b128 v189, v[0:3] offset:18000
	v_add_u32_e32 v7, s2, v7
	global_load_dwordx4 v[0:3], v[6:7], off
	global_load_dwordx4 v[10:13], v[4:5], off offset:1136
	s_mov_b32 s6, 0x4755a5e
	s_mov_b32 s7, 0x3fe2cf23
	;; [unrolled: 1-line block ×3, first 2 shown]
	s_waitcnt vmcnt(0)
	buffer_store_dword v10, off, s[28:31], 0 offset:524 ; 4-byte Folded Spill
	s_nop 0
	buffer_store_dword v11, off, s[28:31], 0 offset:528 ; 4-byte Folded Spill
	buffer_store_dword v12, off, s[28:31], 0 offset:532 ; 4-byte Folded Spill
	;; [unrolled: 1-line block ×3, first 2 shown]
	v_mul_f64 v[8:9], v[2:3], v[12:13]
	v_fmac_f64_e32 v[8:9], v[0:1], v[10:11]
	v_mul_f64 v[0:1], v[0:1], v[12:13]
	v_fma_f64 v[10:11], v[2:3], v[10:11], -v[0:1]
	v_mad_u64_u32 v[0:1], s[4:5], s4, v188, v[6:7]
	v_add_u32_e32 v1, s2, v1
	s_mov_b32 s2, 0xe000
	ds_write_b128 v189, v[8:11] offset:38000
	v_add_co_u32_e32 v8, vcc, s2, v212
	v_addc_co_u32_e32 v9, vcc, 0, v213, vcc
	global_load_dwordx4 v[4:7], v[8:9], off offset:656
	v_accvgpr_write_b32 a25, v9
	global_load_dwordx4 v[0:3], v[0:1], off
	v_accvgpr_write_b32 a24, v8
	s_movk_i32 s2, 0xab
	s_mov_b32 s4, 0x372fe950
	s_mov_b32 s5, 0x3fd3c6ef
	;; [unrolled: 1-line block ×3, first 2 shown]
	s_waitcnt vmcnt(1)
	v_pk_mov_b32 v[8:9], v[6:7], v[6:7] op_sel:[0,1]
	v_pk_mov_b32 v[6:7], v[4:5], v[4:5] op_sel:[0,1]
	s_waitcnt vmcnt(0)
	v_mul_f64 v[4:5], v[2:3], v[8:9]
	v_fmac_f64_e32 v[4:5], v[0:1], v[6:7]
	v_mul_f64 v[0:1], v[0:1], v[8:9]
	buffer_store_dword v6, off, s[28:31], 0 offset:168 ; 4-byte Folded Spill
	s_nop 0
	buffer_store_dword v7, off, s[28:31], 0 offset:172 ; 4-byte Folded Spill
	buffer_store_dword v8, off, s[28:31], 0 offset:176 ; 4-byte Folded Spill
	;; [unrolled: 1-line block ×3, first 2 shown]
	v_fma_f64 v[6:7], v[2:3], v[6:7], -v[0:1]
	ds_write_b128 v189, v[4:7] offset:58000
	s_waitcnt lgkmcnt(0)
	s_barrier
	ds_read_b128 v[28:31], v189
	ds_read_b128 v[40:43], v189 offset:20000
	ds_read_b128 v[44:47], v189 offset:40000
	;; [unrolled: 1-line block ×29, first 2 shown]
	s_waitcnt lgkmcnt(14)
	v_add_f64 v[64:65], v[28:29], v[40:41]
	v_add_f64 v[100:101], v[64:65], v[44:45]
	;; [unrolled: 1-line block ×3, first 2 shown]
	v_fmac_f64_e32 v[28:29], -0.5, v[64:65]
	v_add_f64 v[66:67], v[42:43], -v[46:47]
	v_fma_f64 v[64:65], s[16:17], v[66:67], v[28:29]
	v_fmac_f64_e32 v[28:29], s[18:19], v[66:67]
	v_add_f64 v[66:67], v[30:31], v[42:43]
	v_add_f64 v[42:43], v[42:43], v[46:47]
	v_fmac_f64_e32 v[30:31], -0.5, v[42:43]
	v_add_f64 v[40:41], v[40:41], -v[44:45]
	v_add_f64 v[102:103], v[66:67], v[46:47]
	v_fma_f64 v[66:67], s[18:19], v[40:41], v[30:31]
	v_fmac_f64_e32 v[30:31], s[16:17], v[40:41]
	v_add_f64 v[40:41], v[0:1], v[48:49]
	v_add_f64 v[44:45], v[40:41], v[52:53]
	v_add_f64 v[40:41], v[48:49], v[52:53]
	v_fmac_f64_e32 v[0:1], -0.5, v[40:41]
	v_add_f64 v[42:43], v[50:51], -v[54:55]
	v_fma_f64 v[40:41], s[16:17], v[42:43], v[0:1]
	v_fmac_f64_e32 v[0:1], s[18:19], v[42:43]
	v_add_f64 v[42:43], v[2:3], v[50:51]
	v_add_f64 v[46:47], v[42:43], v[54:55]
	;; [unrolled: 1-line block ×3, first 2 shown]
	v_fmac_f64_e32 v[2:3], -0.5, v[42:43]
	v_add_f64 v[48:49], v[48:49], -v[52:53]
	v_add_f64 v[50:51], v[68:69], v[128:129]
	v_fma_f64 v[42:43], s[18:19], v[48:49], v[2:3]
	v_fmac_f64_e32 v[2:3], s[16:17], v[48:49]
	v_add_f64 v[48:49], v[4:5], v[68:69]
	v_fmac_f64_e32 v[4:5], -0.5, v[50:51]
	v_add_f64 v[50:51], v[70:71], -v[130:131]
	v_add_f64 v[54:55], v[70:71], v[130:131]
	v_fma_f64 v[52:53], s[16:17], v[50:51], v[4:5]
	v_fmac_f64_e32 v[4:5], s[18:19], v[50:51]
	v_add_f64 v[50:51], v[6:7], v[70:71]
	v_fmac_f64_e32 v[6:7], -0.5, v[54:55]
	v_add_f64 v[68:69], v[68:69], -v[128:129]
	v_add_f64 v[70:71], v[74:75], v[78:79]
	v_fma_f64 v[54:55], s[18:19], v[68:69], v[6:7]
	v_fmac_f64_e32 v[6:7], s[16:17], v[68:69]
	v_add_f64 v[68:69], v[8:9], v[74:75]
	v_fmac_f64_e32 v[8:9], -0.5, v[70:71]
	v_add_f64 v[70:71], v[76:77], -v[80:81]
	v_fma_f64 v[72:73], s[16:17], v[70:71], v[8:9]
	v_fmac_f64_e32 v[8:9], s[18:19], v[70:71]
	v_add_f64 v[70:71], v[10:11], v[76:77]
	v_add_f64 v[76:77], v[76:77], v[80:81]
	;; [unrolled: 1-line block ×3, first 2 shown]
	v_fmac_f64_e32 v[10:11], -0.5, v[76:77]
	v_add_f64 v[76:77], v[74:75], -v[78:79]
	v_add_f64 v[78:79], v[92:93], v[96:97]
	v_fma_f64 v[74:75], s[18:19], v[76:77], v[10:11]
	v_fmac_f64_e32 v[10:11], s[16:17], v[76:77]
	v_add_f64 v[76:77], v[16:17], v[92:93]
	v_fmac_f64_e32 v[16:17], -0.5, v[78:79]
	v_add_f64 v[78:79], v[94:95], -v[98:99]
	v_add_f64 v[82:83], v[94:95], v[98:99]
	v_add_f64 v[70:71], v[70:71], v[80:81]
	v_fma_f64 v[80:81], s[16:17], v[78:79], v[16:17]
	v_fmac_f64_e32 v[16:17], s[18:19], v[78:79]
	v_add_f64 v[78:79], v[18:19], v[94:95]
	v_fmac_f64_e32 v[18:19], -0.5, v[82:83]
	v_add_f64 v[92:93], v[92:93], -v[96:97]
	v_fma_f64 v[82:83], s[18:19], v[92:93], v[18:19]
	v_fmac_f64_e32 v[18:19], s[16:17], v[92:93]
	s_waitcnt lgkmcnt(13)
	v_add_f64 v[92:93], v[20:21], v[104:105]
	v_add_f64 v[76:77], v[76:77], v[96:97]
	s_waitcnt lgkmcnt(12)
	v_add_f64 v[96:97], v[92:93], v[108:109]
	v_add_f64 v[92:93], v[104:105], v[108:109]
	v_fmac_f64_e32 v[20:21], -0.5, v[92:93]
	v_add_f64 v[94:95], v[106:107], -v[110:111]
	v_fma_f64 v[92:93], s[16:17], v[94:95], v[20:21]
	v_fmac_f64_e32 v[20:21], s[18:19], v[94:95]
	v_add_f64 v[94:95], v[22:23], v[106:107]
	v_add_f64 v[78:79], v[78:79], v[98:99]
	;; [unrolled: 1-line block ×4, first 2 shown]
	v_fmac_f64_e32 v[22:23], -0.5, v[94:95]
	v_add_f64 v[104:105], v[104:105], -v[108:109]
	v_fma_f64 v[94:95], s[18:19], v[104:105], v[22:23]
	v_fmac_f64_e32 v[22:23], s[16:17], v[104:105]
	s_waitcnt lgkmcnt(10)
	v_add_f64 v[104:105], v[32:33], v[120:121]
	s_waitcnt lgkmcnt(9)
	v_add_f64 v[108:109], v[104:105], v[124:125]
	v_add_f64 v[104:105], v[120:121], v[124:125]
	v_fmac_f64_e32 v[32:33], -0.5, v[104:105]
	v_add_f64 v[106:107], v[122:123], -v[126:127]
	v_fma_f64 v[104:105], s[16:17], v[106:107], v[32:33]
	v_fmac_f64_e32 v[32:33], s[18:19], v[106:107]
	v_add_f64 v[106:107], v[34:35], v[122:123]
	v_add_f64 v[110:111], v[106:107], v[126:127]
	;; [unrolled: 1-line block ×3, first 2 shown]
	v_fmac_f64_e32 v[34:35], -0.5, v[106:107]
	v_add_f64 v[120:121], v[120:121], -v[124:125]
	v_fma_f64 v[106:107], s[18:19], v[120:121], v[34:35]
	v_fmac_f64_e32 v[34:35], s[16:17], v[120:121]
	s_waitcnt lgkmcnt(7)
	v_add_f64 v[120:121], v[36:37], v[112:113]
	s_waitcnt lgkmcnt(6)
	v_add_f64 v[124:125], v[120:121], v[116:117]
	v_add_f64 v[120:121], v[112:113], v[116:117]
	v_fmac_f64_e32 v[36:37], -0.5, v[120:121]
	v_add_f64 v[122:123], v[114:115], -v[118:119]
	v_fma_f64 v[120:121], s[16:17], v[122:123], v[36:37]
	v_fmac_f64_e32 v[36:37], s[18:19], v[122:123]
	v_add_f64 v[122:123], v[38:39], v[114:115]
	v_add_f64 v[114:115], v[114:115], v[118:119]
	v_fmac_f64_e32 v[38:39], -0.5, v[114:115]
	v_add_f64 v[112:113], v[112:113], -v[116:117]
	v_add_f64 v[126:127], v[122:123], v[118:119]
	v_fma_f64 v[122:123], s[18:19], v[112:113], v[38:39]
	v_fmac_f64_e32 v[38:39], s[16:17], v[112:113]
	s_waitcnt lgkmcnt(4)
	v_add_f64 v[112:113], v[24:25], v[84:85]
	s_waitcnt lgkmcnt(3)
	v_add_f64 v[116:117], v[112:113], v[88:89]
	v_add_f64 v[112:113], v[84:85], v[88:89]
	v_fmac_f64_e32 v[24:25], -0.5, v[112:113]
	v_add_f64 v[114:115], v[86:87], -v[90:91]
	v_fma_f64 v[112:113], s[16:17], v[114:115], v[24:25]
	v_fmac_f64_e32 v[24:25], s[18:19], v[114:115]
	v_add_f64 v[114:115], v[26:27], v[86:87]
	v_add_f64 v[86:87], v[86:87], v[90:91]
	v_fmac_f64_e32 v[26:27], -0.5, v[86:87]
	v_add_f64 v[84:85], v[84:85], -v[88:89]
	v_add_f64 v[118:119], v[114:115], v[90:91]
	;; [unrolled: 16-line block ×3, first 2 shown]
	v_fma_f64 v[86:87], s[18:19], v[56:57], v[14:15]
	v_fmac_f64_e32 v[14:15], s[16:17], v[56:57]
	v_mul_lo_u16_e32 v56, 3, v207
	v_lshlrev_b32_e32 v56, 4, v56
	s_barrier
	ds_write_b128 v56, v[100:103]
	buffer_store_dword v56, off, s[28:31], 0 offset:4 ; 4-byte Folded Spill
	ds_write_b128 v56, v[64:67] offset:16
	ds_write_b128 v56, v[28:31] offset:32
	v_mul_u32_u24_e32 v28, 3, v190
	v_lshlrev_b32_e32 v28, 4, v28
	ds_write_b128 v28, v[44:47]
	buffer_store_dword v28, off, s[28:31], 0 offset:20 ; 4-byte Folded Spill
	ds_write_b128 v28, v[40:43] offset:16
	ds_write_b128 v28, v[0:3] offset:32
	v_mul_u32_u24_e32 v0, 3, v191
	v_add_f64 v[48:49], v[48:49], v[128:129]
	v_add_f64 v[50:51], v[50:51], v[130:131]
	v_lshlrev_b32_e32 v0, 4, v0
	buffer_store_dword v0, off, s[28:31], 0 offset:16 ; 4-byte Folded Spill
	ds_write_b128 v0, v[48:51]
	ds_write_b128 v0, v[52:55] offset:16
	ds_write_b128 v0, v[4:7] offset:32
	v_mul_u32_u24_e32 v0, 3, v192
	v_lshlrev_b32_e32 v0, 4, v0
	buffer_store_dword v0, off, s[28:31], 0 offset:284 ; 4-byte Folded Spill
	ds_write_b128 v0, v[68:71]
	ds_write_b128 v0, v[72:75] offset:16
	ds_write_b128 v0, v[8:11] offset:32
	v_mul_u32_u24_e32 v0, 3, v214
	;; [unrolled: 6-line block ×5, first 2 shown]
	v_lshlrev_b32_e32 v0, 4, v0
	buffer_store_dword v0, off, s[28:31], 0 ; 4-byte Folded Spill
	ds_write_b128 v0, v[124:127]
	ds_write_b128 v0, v[120:123] offset:16
	ds_write_b128 v0, v[36:39] offset:32
	v_mul_lo_u16_sdwa v120, v207, s2 dst_sel:DWORD dst_unused:UNUSED_PAD src0_sel:BYTE_0 src1_sel:DWORD
	v_lshrrev_b16_e32 v203, 9, v120
	v_mul_u32_u24_e32 v0, 3, v134
	v_mul_lo_u16_e32 v120, 3, v203
	v_lshlrev_b32_e32 v0, 4, v0
	v_sub_u16_e32 v120, v207, v120
	buffer_store_dword v0, off, s[28:31], 0 offset:12 ; 4-byte Folded Spill
	ds_write_b128 v0, v[116:119]
	ds_write_b128 v0, v[112:115] offset:16
	ds_write_b128 v0, v[24:27] offset:32
	v_mul_u32_u24_e32 v0, 3, v135
	v_and_b32_e32 v204, 0xff, v120
	v_lshlrev_b32_e32 v0, 4, v0
	v_lshlrev_b32_e32 v120, 6, v204
	buffer_store_dword v0, off, s[28:31], 0 offset:8 ; 4-byte Folded Spill
	ds_write_b128 v0, v[88:91]
	ds_write_b128 v0, v[84:87] offset:16
	ds_write_b128 v0, v[12:15] offset:32
	s_waitcnt lgkmcnt(0)
	s_barrier
	ds_read_b128 v[20:23], v189
	ds_read_b128 v[116:119], v189 offset:12000
	ds_read_b128 v[112:115], v189 offset:24000
	;; [unrolled: 1-line block ×29, first 2 shown]
	global_load_dwordx4 v[126:129], v120, s[10:11] offset:48
	global_load_dwordx4 v[130:133], v120, s[10:11] offset:32
	;; [unrolled: 1-line block ×3, first 2 shown]
	global_load_dwordx4 v[134:137], v120, s[10:11]
	s_waitcnt vmcnt(0)
	buffer_store_dword v134, off, s[28:31], 0 offset:604 ; 4-byte Folded Spill
	s_nop 0
	buffer_store_dword v135, off, s[28:31], 0 offset:608 ; 4-byte Folded Spill
	buffer_store_dword v136, off, s[28:31], 0 offset:612 ; 4-byte Folded Spill
	;; [unrolled: 1-line block ×3, first 2 shown]
	s_waitcnt lgkmcnt(14)
	v_mul_f64 v[120:121], v[118:119], v[136:137]
	v_fma_f64 v[120:121], v[116:117], v[134:135], -v[120:121]
	v_mul_f64 v[116:117], v[116:117], v[136:137]
	v_fmac_f64_e32 v[116:117], v[118:119], v[134:135]
	v_pk_mov_b32 v[136:137], v[124:125], v[124:125] op_sel:[0,1]
	v_pk_mov_b32 v[134:135], v[122:123], v[122:123] op_sel:[0,1]
	buffer_store_dword v134, off, s[28:31], 0 offset:588 ; 4-byte Folded Spill
	s_nop 0
	buffer_store_dword v135, off, s[28:31], 0 offset:592 ; 4-byte Folded Spill
	buffer_store_dword v136, off, s[28:31], 0 offset:596 ; 4-byte Folded Spill
	;; [unrolled: 1-line block ×4, first 2 shown]
	s_nop 0
	buffer_store_dword v131, off, s[28:31], 0 offset:576 ; 4-byte Folded Spill
	buffer_store_dword v132, off, s[28:31], 0 offset:580 ; 4-byte Folded Spill
	;; [unrolled: 1-line block ×3, first 2 shown]
	v_mul_f64 v[118:119], v[114:115], v[136:137]
	v_fma_f64 v[122:123], v[112:113], v[134:135], -v[118:119]
	v_mul_f64 v[118:119], v[112:113], v[136:137]
	v_mul_f64 v[112:113], v[110:111], v[132:133]
	v_fmac_f64_e32 v[118:119], v[114:115], v[134:135]
	v_fma_f64 v[124:125], v[108:109], v[130:131], -v[112:113]
	v_pk_mov_b32 v[112:113], v[126:127], v[126:127] op_sel:[0,1]
	v_pk_mov_b32 v[114:115], v[128:129], v[128:129] op_sel:[0,1]
	buffer_store_dword v112, off, s[28:31], 0 offset:556 ; 4-byte Folded Spill
	s_nop 0
	buffer_store_dword v113, off, s[28:31], 0 offset:560 ; 4-byte Folded Spill
	buffer_store_dword v114, off, s[28:31], 0 offset:564 ; 4-byte Folded Spill
	;; [unrolled: 1-line block ×3, first 2 shown]
	v_mul_f64 v[108:109], v[108:109], v[132:133]
	v_fmac_f64_e32 v[108:109], v[110:111], v[130:131]
	v_mul_f64 v[110:111], v[106:107], v[114:115]
	v_fma_f64 v[126:127], v[104:105], v[112:113], -v[110:111]
	v_mul_f64 v[110:111], v[104:105], v[114:115]
	v_mul_lo_u16_sdwa v104, v190, s2 dst_sel:DWORD dst_unused:UNUSED_PAD src0_sel:BYTE_0 src1_sel:DWORD
	v_lshrrev_b16_e32 v201, 9, v104
	v_mul_lo_u16_e32 v104, 3, v201
	v_sub_u16_e32 v104, v190, v104
	v_and_b32_e32 v202, 0xff, v104
	v_lshlrev_b32_e32 v104, 6, v202
	v_fmac_f64_e32 v[110:111], v[106:107], v[112:113]
	global_load_dwordx4 v[112:115], v104, s[10:11] offset:48
	global_load_dwordx4 v[134:137], v104, s[10:11] offset:32
	;; [unrolled: 1-line block ×3, first 2 shown]
	global_load_dwordx4 v[142:145], v104, s[10:11]
	s_waitcnt vmcnt(0)
	buffer_store_dword v142, off, s[28:31], 0 offset:668 ; 4-byte Folded Spill
	s_nop 0
	buffer_store_dword v143, off, s[28:31], 0 offset:672 ; 4-byte Folded Spill
	buffer_store_dword v144, off, s[28:31], 0 offset:676 ; 4-byte Folded Spill
	;; [unrolled: 1-line block ×4, first 2 shown]
	s_nop 0
	buffer_store_dword v139, off, s[28:31], 0 offset:656 ; 4-byte Folded Spill
	buffer_store_dword v140, off, s[28:31], 0 offset:660 ; 4-byte Folded Spill
	;; [unrolled: 1-line block ×3, first 2 shown]
	s_mov_b32 s2, 0xaaab
	v_mul_f64 v[104:105], v[102:103], v[144:145]
	v_fma_f64 v[132:133], v[100:101], v[142:143], -v[104:105]
	v_pk_mov_b32 v[104:105], v[134:135], v[134:135] op_sel:[0,1]
	v_pk_mov_b32 v[106:107], v[136:137], v[136:137] op_sel:[0,1]
	buffer_store_dword v104, off, s[28:31], 0 offset:636 ; 4-byte Folded Spill
	s_nop 0
	buffer_store_dword v105, off, s[28:31], 0 offset:640 ; 4-byte Folded Spill
	buffer_store_dword v106, off, s[28:31], 0 offset:644 ; 4-byte Folded Spill
	;; [unrolled: 1-line block ×4, first 2 shown]
	s_nop 0
	buffer_store_dword v113, off, s[28:31], 0 offset:624 ; 4-byte Folded Spill
	buffer_store_dword v114, off, s[28:31], 0 offset:628 ; 4-byte Folded Spill
	;; [unrolled: 1-line block ×3, first 2 shown]
	v_mul_f64 v[128:129], v[100:101], v[144:145]
	v_mul_f64 v[100:101], v[98:99], v[140:141]
	v_fmac_f64_e32 v[128:129], v[102:103], v[142:143]
	v_fma_f64 v[102:103], v[96:97], v[138:139], -v[100:101]
	v_mul_f64 v[96:97], v[96:97], v[140:141]
	v_fmac_f64_e32 v[96:97], v[98:99], v[138:139]
	v_mul_f64 v[98:99], v[94:95], v[106:107]
	v_fma_f64 v[134:135], v[92:93], v[104:105], -v[98:99]
	v_mul_f64 v[98:99], v[92:93], v[106:107]
	v_mul_f64 v[92:93], v[90:91], v[114:115]
	v_fma_f64 v[136:137], v[88:89], v[112:113], -v[92:93]
	v_mul_f64 v[130:131], v[88:89], v[114:115]
	v_mul_u32_u24_sdwa v88, v191, s2 dst_sel:DWORD dst_unused:UNUSED_PAD src0_sel:WORD_0 src1_sel:DWORD
	v_lshrrev_b32_e32 v199, 17, v88
	v_mul_lo_u16_e32 v88, 3, v199
	v_sub_u16_e32 v200, v191, v88
	v_lshlrev_b16_e32 v88, 2, v200
	v_lshlrev_b32_e32 v88, 4, v88
	v_fmac_f64_e32 v[98:99], v[94:95], v[104:105]
	v_fmac_f64_e32 v[130:131], v[90:91], v[112:113]
	global_load_dwordx4 v[90:93], v88, s[10:11] offset:48
	global_load_dwordx4 v[104:107], v88, s[10:11] offset:32
	;; [unrolled: 1-line block ×3, first 2 shown]
	global_load_dwordx4 v[138:141], v88, s[10:11]
	s_waitcnt vmcnt(0)
	v_mul_f64 v[88:89], v[86:87], v[140:141]
	v_pk_mov_b32 v[142:143], v[140:141], v[140:141] op_sel:[0,1]
	v_pk_mov_b32 v[140:141], v[138:139], v[138:139] op_sel:[0,1]
	buffer_store_dword v140, off, s[28:31], 0 offset:716 ; 4-byte Folded Spill
	s_nop 0
	buffer_store_dword v141, off, s[28:31], 0 offset:720 ; 4-byte Folded Spill
	buffer_store_dword v142, off, s[28:31], 0 offset:724 ; 4-byte Folded Spill
	buffer_store_dword v143, off, s[28:31], 0 offset:728 ; 4-byte Folded Spill
	buffer_store_dword v112, off, s[28:31], 0 offset:700 ; 4-byte Folded Spill
	s_nop 0
	buffer_store_dword v113, off, s[28:31], 0 offset:704 ; 4-byte Folded Spill
	buffer_store_dword v114, off, s[28:31], 0 offset:708 ; 4-byte Folded Spill
	buffer_store_dword v115, off, s[28:31], 0 offset:712 ; 4-byte Folded Spill
	;; [unrolled: 5-line block ×4, first 2 shown]
	v_fma_f64 v[144:145], v[84:85], v[138:139], -v[88:89]
	v_mul_f64 v[138:139], v[84:85], v[142:143]
	v_mul_f64 v[84:85], v[82:83], v[114:115]
	v_fmac_f64_e32 v[138:139], v[86:87], v[140:141]
	v_fma_f64 v[146:147], v[80:81], v[112:113], -v[84:85]
	v_mul_f64 v[140:141], v[80:81], v[114:115]
	v_mul_f64 v[80:81], v[78:79], v[106:107]
	v_fma_f64 v[150:151], v[76:77], v[104:105], -v[80:81]
	v_mul_f64 v[142:143], v[76:77], v[106:107]
	v_mul_f64 v[76:77], v[74:75], v[92:93]
	v_fmac_f64_e32 v[142:143], v[78:79], v[104:105]
	v_fma_f64 v[78:79], v[72:73], v[90:91], -v[76:77]
	v_mul_f64 v[72:73], v[72:73], v[92:93]
	v_fmac_f64_e32 v[72:73], v[74:75], v[90:91]
	v_mul_u32_u24_sdwa v74, v192, s2 dst_sel:DWORD dst_unused:UNUSED_PAD src0_sel:WORD_0 src1_sel:DWORD
	v_lshrrev_b32_e32 v197, 17, v74
	v_mul_lo_u16_e32 v74, 3, v197
	v_sub_u16_e32 v198, v192, v74
	v_lshlrev_b16_e32 v74, 2, v198
	v_lshlrev_b32_e32 v74, 4, v74
	v_fmac_f64_e32 v[140:141], v[82:83], v[112:113]
	global_load_dwordx4 v[80:83], v74, s[10:11] offset:48
	global_load_dwordx4 v[84:87], v74, s[10:11] offset:32
	;; [unrolled: 1-line block ×3, first 2 shown]
	global_load_dwordx4 v[92:95], v74, s[10:11]
	s_waitcnt vmcnt(0) lgkmcnt(13)
	v_mul_f64 v[74:75], v[70:71], v[94:95]
	v_fma_f64 v[154:155], v[68:69], v[92:93], -v[74:75]
	buffer_store_dword v92, off, s[28:31], 0 offset:748 ; 4-byte Folded Spill
	s_nop 0
	buffer_store_dword v93, off, s[28:31], 0 offset:752 ; 4-byte Folded Spill
	buffer_store_dword v94, off, s[28:31], 0 offset:756 ; 4-byte Folded Spill
	buffer_store_dword v95, off, s[28:31], 0 offset:760 ; 4-byte Folded Spill
	buffer_store_dword v88, off, s[28:31], 0 offset:764 ; 4-byte Folded Spill
	s_nop 0
	buffer_store_dword v89, off, s[28:31], 0 offset:768 ; 4-byte Folded Spill
	buffer_store_dword v90, off, s[28:31], 0 offset:772 ; 4-byte Folded Spill
	buffer_store_dword v91, off, s[28:31], 0 offset:776 ; 4-byte Folded Spill
	;; [unrolled: 5-line block ×4, first 2 shown]
	v_mul_f64 v[148:149], v[68:69], v[94:95]
	s_waitcnt lgkmcnt(12)
	v_mul_f64 v[68:69], v[66:67], v[90:91]
	v_fma_f64 v[158:159], v[64:65], v[88:89], -v[68:69]
	v_mul_f64 v[152:153], v[64:65], v[90:91]
	s_waitcnt lgkmcnt(11)
	v_mul_f64 v[64:65], v[62:63], v[86:87]
	v_fma_f64 v[162:163], v[60:61], v[84:85], -v[64:65]
	v_mul_f64 v[156:157], v[60:61], v[86:87]
	s_waitcnt lgkmcnt(10)
	v_mul_f64 v[60:61], v[58:59], v[82:83]
	v_fmac_f64_e32 v[156:157], v[62:63], v[84:85]
	v_fma_f64 v[62:63], v[56:57], v[80:81], -v[60:61]
	v_mul_f64 v[56:57], v[56:57], v[82:83]
	v_fmac_f64_e32 v[56:57], v[58:59], v[80:81]
	v_mul_u32_u24_sdwa v58, v214, s2 dst_sel:DWORD dst_unused:UNUSED_PAD src0_sel:WORD_0 src1_sel:DWORD
	v_lshrrev_b32_e32 v195, 17, v58
	v_mul_lo_u16_e32 v58, 3, v195
	v_sub_u16_e32 v196, v214, v58
	v_lshlrev_b16_e32 v58, 2, v196
	v_lshlrev_b32_e32 v58, 4, v58
	v_fmac_f64_e32 v[148:149], v[70:71], v[92:93]
	v_fmac_f64_e32 v[152:153], v[66:67], v[88:89]
	global_load_dwordx4 v[64:67], v58, s[10:11] offset:48
	global_load_dwordx4 v[68:71], v58, s[10:11] offset:32
	;; [unrolled: 1-line block ×3, first 2 shown]
	global_load_dwordx4 v[80:83], v58, s[10:11]
	s_waitcnt vmcnt(3)
	v_accvgpr_write_b32 a211, v67
	s_waitcnt vmcnt(2) lgkmcnt(6)
	v_mul_f64 v[168:169], v[44:45], v[70:71]
	s_waitcnt vmcnt(1)
	v_mul_f64 v[164:165], v[48:49], v[76:77]
	s_waitcnt vmcnt(0)
	v_mul_f64 v[58:59], v[54:55], v[82:83]
	v_fma_f64 v[166:167], v[52:53], v[80:81], -v[58:59]
	v_mul_f64 v[160:161], v[52:53], v[82:83]
	v_mul_f64 v[52:53], v[50:51], v[76:77]
	v_fma_f64 v[170:171], v[48:49], v[74:75], -v[52:53]
	v_mul_f64 v[48:49], v[46:47], v[70:71]
	v_fma_f64 v[174:175], v[44:45], v[68:69], -v[48:49]
	s_waitcnt lgkmcnt(5)
	v_mul_f64 v[44:45], v[42:43], v[66:67]
	v_fmac_f64_e32 v[168:169], v[46:47], v[68:69]
	v_fma_f64 v[46:47], v[40:41], v[64:65], -v[44:45]
	v_mul_f64 v[40:41], v[40:41], v[66:67]
	v_fmac_f64_e32 v[40:41], v[42:43], v[64:65]
	v_mul_u32_u24_sdwa v42, v215, s2 dst_sel:DWORD dst_unused:UNUSED_PAD src0_sel:WORD_0 src1_sel:DWORD
	v_lshrrev_b32_e32 v193, 17, v42
	v_mul_lo_u16_e32 v42, 3, v193
	v_sub_u16_e32 v194, v215, v42
	v_lshlrev_b16_e32 v42, 2, v194
	v_lshlrev_b32_e32 v42, 4, v42
	v_fmac_f64_e32 v[160:161], v[54:55], v[80:81]
	v_fmac_f64_e32 v[164:165], v[50:51], v[74:75]
	v_accvgpr_write_b32 a210, v66
	v_accvgpr_write_b32 a209, v65
	;; [unrolled: 1-line block ×3, first 2 shown]
	global_load_dwordx4 v[48:51], v42, s[10:11] offset:48
	global_load_dwordx4 v[52:55], v42, s[10:11] offset:32
	;; [unrolled: 1-line block ×3, first 2 shown]
	global_load_dwordx4 v[64:67], v42, s[10:11]
	v_accvgpr_write_b32 a231, v83
	s_mov_b32 s2, 0x134454ff
	v_accvgpr_write_b32 a230, v82
	v_accvgpr_write_b32 a229, v81
	;; [unrolled: 1-line block ×3, first 2 shown]
	s_mov_b32 s3, 0x3fee6f0e
	s_mov_b32 s14, s2
	v_accvgpr_write_b32 a207, v71
	v_accvgpr_write_b32 a206, v70
	v_accvgpr_write_b32 a205, v69
	v_accvgpr_write_b32 a204, v68
	v_accvgpr_write_b32 a203, v77
	v_accvgpr_write_b32 a202, v76
	v_accvgpr_write_b32 a201, v75
	v_accvgpr_write_b32 a200, v74
	s_waitcnt lgkmcnt(0)
	s_barrier
	s_waitcnt vmcnt(3)
	v_mul_f64 v[184:185], v[24:25], v[50:51]
	s_waitcnt vmcnt(2)
	v_mul_f64 v[180:181], v[28:29], v[54:55]
	;; [unrolled: 2-line block ×4, first 2 shown]
	v_fma_f64 v[178:179], v[36:37], v[64:65], -v[42:43]
	v_mul_f64 v[172:173], v[36:37], v[66:67]
	v_mul_f64 v[36:37], v[34:35], v[60:61]
	v_fma_f64 v[182:183], v[32:33], v[58:59], -v[36:37]
	v_mul_f64 v[32:33], v[30:31], v[54:55]
	v_fma_f64 v[186:187], v[28:29], v[52:53], -v[32:33]
	v_mul_f64 v[28:29], v[26:27], v[50:51]
	v_fmac_f64_e32 v[180:181], v[30:31], v[52:53]
	v_fma_f64 v[30:31], v[24:25], v[48:49], -v[28:29]
	v_add_f64 v[24:25], v[20:21], v[120:121]
	v_add_f64 v[24:25], v[24:25], v[122:123]
	;; [unrolled: 1-line block ×5, first 2 shown]
	v_fma_f64 v[80:81], -0.5, v[24:25], v[20:21]
	v_add_f64 v[24:25], v[116:117], -v[110:111]
	v_fmac_f64_e32 v[184:185], v[26:27], v[48:49]
	v_fma_f64 v[104:105], s[2:3], v[24:25], v[80:81]
	v_add_f64 v[26:27], v[118:119], -v[108:109]
	v_add_f64 v[28:29], v[120:121], -v[122:123]
	v_add_f64 v[32:33], v[126:127], -v[124:125]
	v_fmac_f64_e32 v[80:81], s[14:15], v[24:25]
	v_fmac_f64_e32 v[104:105], s[6:7], v[26:27]
	v_add_f64 v[28:29], v[28:29], v[32:33]
	v_fmac_f64_e32 v[80:81], s[8:9], v[26:27]
	v_fmac_f64_e32 v[104:105], s[4:5], v[28:29]
	v_fmac_f64_e32 v[80:81], s[4:5], v[28:29]
	v_add_f64 v[28:29], v[120:121], v[126:127]
	v_fmac_f64_e32 v[20:21], -0.5, v[28:29]
	v_fma_f64 v[92:93], s[14:15], v[26:27], v[20:21]
	v_fmac_f64_e32 v[20:21], s[2:3], v[26:27]
	v_fmac_f64_e32 v[92:93], s[6:7], v[24:25]
	v_fmac_f64_e32 v[20:21], s[8:9], v[24:25]
	v_add_f64 v[24:25], v[22:23], v[116:117]
	v_add_f64 v[24:25], v[24:25], v[118:119]
	v_add_f64 v[24:25], v[24:25], v[108:109]
	v_add_f64 v[28:29], v[122:123], -v[120:121]
	v_add_f64 v[32:33], v[124:125], -v[126:127]
	v_add_f64 v[114:115], v[24:25], v[110:111]
	v_add_f64 v[24:25], v[118:119], v[108:109]
	v_add_f64 v[28:29], v[28:29], v[32:33]
	v_fma_f64 v[82:83], -0.5, v[24:25], v[22:23]
	v_add_f64 v[24:25], v[120:121], -v[126:127]
	v_fmac_f64_e32 v[92:93], s[4:5], v[28:29]
	v_fmac_f64_e32 v[20:21], s[4:5], v[28:29]
	v_fma_f64 v[106:107], s[14:15], v[24:25], v[82:83]
	v_add_f64 v[26:27], v[122:123], -v[124:125]
	v_add_f64 v[28:29], v[116:117], -v[118:119]
	v_add_f64 v[32:33], v[110:111], -v[108:109]
	v_fmac_f64_e32 v[82:83], s[2:3], v[24:25]
	v_fmac_f64_e32 v[106:107], s[8:9], v[26:27]
	v_add_f64 v[28:29], v[28:29], v[32:33]
	v_fmac_f64_e32 v[82:83], s[6:7], v[26:27]
	v_fmac_f64_e32 v[106:107], s[4:5], v[28:29]
	v_fmac_f64_e32 v[82:83], s[4:5], v[28:29]
	v_add_f64 v[28:29], v[116:117], v[110:111]
	v_fmac_f64_e32 v[22:23], -0.5, v[28:29]
	v_fma_f64 v[94:95], s[2:3], v[26:27], v[22:23]
	v_fmac_f64_e32 v[22:23], s[14:15], v[26:27]
	v_fmac_f64_e32 v[94:95], s[8:9], v[24:25]
	v_fmac_f64_e32 v[22:23], s[6:7], v[24:25]
	v_add_f64 v[24:25], v[16:17], v[132:133]
	v_add_f64 v[24:25], v[24:25], v[102:103]
	v_add_f64 v[24:25], v[24:25], v[134:135]
	v_add_f64 v[28:29], v[118:119], -v[116:117]
	v_add_f64 v[32:33], v[108:109], -v[110:111]
	v_add_f64 v[116:117], v[24:25], v[136:137]
	v_add_f64 v[24:25], v[102:103], v[134:135]
	v_add_f64 v[28:29], v[28:29], v[32:33]
	v_fma_f64 v[88:89], -0.5, v[24:25], v[16:17]
	v_add_f64 v[24:25], v[128:129], -v[130:131]
	v_fmac_f64_e32 v[94:95], s[4:5], v[28:29]
	;; [unrolled: 28-line block ×5, first 2 shown]
	v_fmac_f64_e32 v[12:13], s[4:5], v[28:29]
	v_fma_f64 v[86:87], s[14:15], v[24:25], v[70:71]
	v_add_f64 v[26:27], v[146:147], -v[150:151]
	v_add_f64 v[28:29], v[138:139], -v[140:141]
	;; [unrolled: 1-line block ×3, first 2 shown]
	v_fmac_f64_e32 v[70:71], s[2:3], v[24:25]
	v_fmac_f64_e32 v[86:87], s[8:9], v[26:27]
	v_add_f64 v[28:29], v[28:29], v[32:33]
	v_fmac_f64_e32 v[70:71], s[6:7], v[26:27]
	v_fmac_f64_e32 v[86:87], s[4:5], v[28:29]
	;; [unrolled: 1-line block ×3, first 2 shown]
	v_add_f64 v[28:29], v[138:139], v[72:73]
	v_fmac_f64_e32 v[14:15], -0.5, v[28:29]
	v_fma_f64 v[78:79], s[2:3], v[26:27], v[14:15]
	v_fmac_f64_e32 v[14:15], s[14:15], v[26:27]
	v_fmac_f64_e32 v[78:79], s[8:9], v[24:25]
	;; [unrolled: 1-line block ×3, first 2 shown]
	v_add_f64 v[24:25], v[8:9], v[154:155]
	v_add_f64 v[24:25], v[24:25], v[158:159]
	;; [unrolled: 1-line block ×3, first 2 shown]
	v_accvgpr_write_b32 a223, v55
	v_add_f64 v[28:29], v[140:141], -v[138:139]
	v_add_f64 v[32:33], v[142:143], -v[72:73]
	v_add_f64 v[72:73], v[24:25], v[62:63]
	v_add_f64 v[24:25], v[158:159], v[162:163]
	v_accvgpr_write_b32 a215, v67
	v_accvgpr_write_b32 a222, v54
	;; [unrolled: 1-line block ×4, first 2 shown]
	v_add_f64 v[28:29], v[28:29], v[32:33]
	v_fma_f64 v[52:53], -0.5, v[24:25], v[8:9]
	v_add_f64 v[24:25], v[148:149], -v[56:57]
	v_fmac_f64_e32 v[172:173], v[38:39], v[64:65]
	v_accvgpr_write_b32 a214, v66
	v_accvgpr_write_b32 a213, v65
	;; [unrolled: 1-line block ×3, first 2 shown]
	v_fmac_f64_e32 v[78:79], s[4:5], v[28:29]
	v_fmac_f64_e32 v[14:15], s[4:5], v[28:29]
	v_fma_f64 v[64:65], s[2:3], v[24:25], v[52:53]
	v_add_f64 v[26:27], v[152:153], -v[156:157]
	v_add_f64 v[28:29], v[154:155], -v[158:159]
	;; [unrolled: 1-line block ×3, first 2 shown]
	v_fmac_f64_e32 v[52:53], s[14:15], v[24:25]
	v_fmac_f64_e32 v[64:65], s[6:7], v[26:27]
	v_add_f64 v[28:29], v[28:29], v[32:33]
	v_fmac_f64_e32 v[52:53], s[8:9], v[26:27]
	v_fmac_f64_e32 v[64:65], s[4:5], v[28:29]
	;; [unrolled: 1-line block ×3, first 2 shown]
	v_add_f64 v[28:29], v[154:155], v[62:63]
	v_accvgpr_write_b32 a219, v61
	v_fmac_f64_e32 v[8:9], -0.5, v[28:29]
	v_accvgpr_write_b32 a218, v60
	v_accvgpr_write_b32 a217, v59
	;; [unrolled: 1-line block ×3, first 2 shown]
	v_fma_f64 v[60:61], s[14:15], v[26:27], v[8:9]
	v_fmac_f64_e32 v[8:9], s[2:3], v[26:27]
	v_fmac_f64_e32 v[60:61], s[6:7], v[24:25]
	;; [unrolled: 1-line block ×3, first 2 shown]
	v_add_f64 v[24:25], v[10:11], v[148:149]
	v_add_f64 v[24:25], v[24:25], v[152:153]
	;; [unrolled: 1-line block ×3, first 2 shown]
	v_add_f64 v[28:29], v[158:159], -v[154:155]
	v_add_f64 v[32:33], v[162:163], -v[62:63]
	v_add_f64 v[74:75], v[24:25], v[56:57]
	v_add_f64 v[24:25], v[152:153], v[156:157]
	;; [unrolled: 1-line block ×3, first 2 shown]
	v_fma_f64 v[54:55], -0.5, v[24:25], v[10:11]
	v_add_f64 v[24:25], v[154:155], -v[62:63]
	v_fmac_f64_e32 v[60:61], s[4:5], v[28:29]
	v_fmac_f64_e32 v[8:9], s[4:5], v[28:29]
	v_fma_f64 v[66:67], s[14:15], v[24:25], v[54:55]
	v_add_f64 v[26:27], v[158:159], -v[162:163]
	v_add_f64 v[28:29], v[148:149], -v[152:153]
	;; [unrolled: 1-line block ×3, first 2 shown]
	v_fmac_f64_e32 v[54:55], s[2:3], v[24:25]
	v_fmac_f64_e32 v[66:67], s[8:9], v[26:27]
	v_add_f64 v[28:29], v[28:29], v[32:33]
	v_fmac_f64_e32 v[54:55], s[6:7], v[26:27]
	v_fmac_f64_e32 v[66:67], s[4:5], v[28:29]
	;; [unrolled: 1-line block ×3, first 2 shown]
	v_add_f64 v[28:29], v[148:149], v[56:57]
	v_fmac_f64_e32 v[10:11], -0.5, v[28:29]
	v_fma_f64 v[62:63], s[2:3], v[26:27], v[10:11]
	v_fmac_f64_e32 v[10:11], s[14:15], v[26:27]
	v_fmac_f64_e32 v[62:63], s[8:9], v[24:25]
	;; [unrolled: 1-line block ×3, first 2 shown]
	v_add_f64 v[24:25], v[4:5], v[166:167]
	v_add_f64 v[24:25], v[24:25], v[170:171]
	;; [unrolled: 1-line block ×3, first 2 shown]
	v_add_f64 v[28:29], v[152:153], -v[148:149]
	v_add_f64 v[32:33], v[156:157], -v[56:57]
	v_add_f64 v[56:57], v[24:25], v[46:47]
	v_add_f64 v[24:25], v[170:171], v[174:175]
	v_accvgpr_write_b32 a227, v51
	v_add_f64 v[28:29], v[28:29], v[32:33]
	v_fma_f64 v[36:37], -0.5, v[24:25], v[4:5]
	v_add_f64 v[24:25], v[160:161], -v[40:41]
	v_accvgpr_write_b32 a226, v50
	v_accvgpr_write_b32 a225, v49
	;; [unrolled: 1-line block ×3, first 2 shown]
	v_fmac_f64_e32 v[62:63], s[4:5], v[28:29]
	v_fmac_f64_e32 v[10:11], s[4:5], v[28:29]
	v_fma_f64 v[48:49], s[2:3], v[24:25], v[36:37]
	v_add_f64 v[26:27], v[164:165], -v[168:169]
	v_add_f64 v[28:29], v[166:167], -v[170:171]
	;; [unrolled: 1-line block ×3, first 2 shown]
	v_fmac_f64_e32 v[36:37], s[14:15], v[24:25]
	v_fmac_f64_e32 v[48:49], s[6:7], v[26:27]
	v_add_f64 v[28:29], v[28:29], v[32:33]
	v_fmac_f64_e32 v[36:37], s[8:9], v[26:27]
	v_fmac_f64_e32 v[48:49], s[4:5], v[28:29]
	;; [unrolled: 1-line block ×3, first 2 shown]
	v_add_f64 v[28:29], v[166:167], v[46:47]
	v_fmac_f64_e32 v[4:5], -0.5, v[28:29]
	v_fma_f64 v[44:45], s[14:15], v[26:27], v[4:5]
	v_fmac_f64_e32 v[4:5], s[2:3], v[26:27]
	v_fmac_f64_e32 v[44:45], s[6:7], v[24:25]
	;; [unrolled: 1-line block ×3, first 2 shown]
	v_add_f64 v[24:25], v[6:7], v[160:161]
	v_add_f64 v[24:25], v[24:25], v[164:165]
	;; [unrolled: 1-line block ×3, first 2 shown]
	v_fmac_f64_e32 v[176:177], v[34:35], v[58:59]
	v_add_f64 v[28:29], v[170:171], -v[166:167]
	v_add_f64 v[32:33], v[174:175], -v[46:47]
	v_add_f64 v[58:59], v[24:25], v[40:41]
	v_add_f64 v[24:25], v[164:165], v[168:169]
	;; [unrolled: 1-line block ×3, first 2 shown]
	v_fma_f64 v[38:39], -0.5, v[24:25], v[6:7]
	v_add_f64 v[24:25], v[166:167], -v[46:47]
	v_fmac_f64_e32 v[44:45], s[4:5], v[28:29]
	v_fmac_f64_e32 v[4:5], s[4:5], v[28:29]
	v_fma_f64 v[50:51], s[14:15], v[24:25], v[38:39]
	v_add_f64 v[26:27], v[170:171], -v[174:175]
	v_add_f64 v[28:29], v[160:161], -v[164:165]
	;; [unrolled: 1-line block ×3, first 2 shown]
	v_fmac_f64_e32 v[38:39], s[2:3], v[24:25]
	v_fmac_f64_e32 v[50:51], s[8:9], v[26:27]
	v_add_f64 v[28:29], v[28:29], v[32:33]
	v_fmac_f64_e32 v[38:39], s[6:7], v[26:27]
	v_fmac_f64_e32 v[50:51], s[4:5], v[28:29]
	v_fmac_f64_e32 v[38:39], s[4:5], v[28:29]
	v_add_f64 v[28:29], v[160:161], v[40:41]
	v_fmac_f64_e32 v[6:7], -0.5, v[28:29]
	v_fma_f64 v[46:47], s[2:3], v[26:27], v[6:7]
	v_fmac_f64_e32 v[6:7], s[14:15], v[26:27]
	v_fmac_f64_e32 v[46:47], s[8:9], v[24:25]
	;; [unrolled: 1-line block ×3, first 2 shown]
	v_add_f64 v[24:25], v[0:1], v[178:179]
	v_add_f64 v[24:25], v[24:25], v[182:183]
	;; [unrolled: 1-line block ×3, first 2 shown]
	v_add_f64 v[28:29], v[164:165], -v[160:161]
	v_add_f64 v[32:33], v[168:169], -v[40:41]
	v_add_f64 v[40:41], v[24:25], v[30:31]
	v_add_f64 v[24:25], v[182:183], v[186:187]
	;; [unrolled: 1-line block ×3, first 2 shown]
	v_fma_f64 v[24:25], -0.5, v[24:25], v[0:1]
	v_add_f64 v[26:27], v[172:173], -v[184:185]
	v_fmac_f64_e32 v[46:47], s[4:5], v[28:29]
	v_fmac_f64_e32 v[6:7], s[4:5], v[28:29]
	v_fma_f64 v[32:33], s[2:3], v[26:27], v[24:25]
	v_add_f64 v[34:35], v[176:177], -v[180:181]
	v_add_f64 v[28:29], v[178:179], -v[182:183]
	;; [unrolled: 1-line block ×3, first 2 shown]
	v_fmac_f64_e32 v[24:25], s[14:15], v[26:27]
	v_fmac_f64_e32 v[32:33], s[6:7], v[34:35]
	v_add_f64 v[28:29], v[28:29], v[42:43]
	v_fmac_f64_e32 v[24:25], s[8:9], v[34:35]
	v_fmac_f64_e32 v[32:33], s[4:5], v[28:29]
	;; [unrolled: 1-line block ×3, first 2 shown]
	v_add_f64 v[28:29], v[178:179], v[30:31]
	v_fmac_f64_e32 v[0:1], -0.5, v[28:29]
	v_fma_f64 v[28:29], s[14:15], v[34:35], v[0:1]
	v_fmac_f64_e32 v[0:1], s[2:3], v[34:35]
	v_fmac_f64_e32 v[28:29], s[6:7], v[26:27]
	;; [unrolled: 1-line block ×3, first 2 shown]
	v_add_f64 v[26:27], v[2:3], v[172:173]
	v_add_f64 v[42:43], v[182:183], -v[178:179]
	v_add_f64 v[120:121], v[186:187], -v[30:31]
	v_add_f64 v[26:27], v[26:27], v[176:177]
	v_add_f64 v[42:43], v[42:43], v[120:121]
	;; [unrolled: 1-line block ×3, first 2 shown]
	v_fmac_f64_e32 v[28:29], s[4:5], v[42:43]
	v_fmac_f64_e32 v[0:1], s[4:5], v[42:43]
	v_add_f64 v[42:43], v[26:27], v[184:185]
	v_add_f64 v[26:27], v[176:177], v[180:181]
	v_fma_f64 v[26:27], -0.5, v[26:27], v[2:3]
	v_add_f64 v[120:121], v[178:179], -v[30:31]
	v_fma_f64 v[34:35], s[14:15], v[120:121], v[26:27]
	v_add_f64 v[122:123], v[182:183], -v[186:187]
	v_add_f64 v[30:31], v[172:173], -v[176:177]
	;; [unrolled: 1-line block ×3, first 2 shown]
	v_fmac_f64_e32 v[26:27], s[2:3], v[120:121]
	v_fmac_f64_e32 v[34:35], s[8:9], v[122:123]
	v_add_f64 v[30:31], v[30:31], v[124:125]
	v_fmac_f64_e32 v[26:27], s[6:7], v[122:123]
	v_fmac_f64_e32 v[34:35], s[4:5], v[30:31]
	;; [unrolled: 1-line block ×3, first 2 shown]
	v_add_f64 v[30:31], v[172:173], v[184:185]
	v_fmac_f64_e32 v[2:3], -0.5, v[30:31]
	v_fma_f64 v[30:31], s[2:3], v[122:123], v[2:3]
	v_fmac_f64_e32 v[2:3], s[14:15], v[122:123]
	v_fmac_f64_e32 v[30:31], s[8:9], v[120:121]
	;; [unrolled: 1-line block ×3, first 2 shown]
	v_mul_u32_u24_e32 v120, 15, v203
	v_add_lshl_u32 v120, v120, v204, 4
	ds_write_b128 v120, v[112:115]
	buffer_store_dword v120, off, s[28:31], 0 offset:288 ; 4-byte Folded Spill
	ds_write_b128 v120, v[104:107] offset:48
	ds_write_b128 v120, v[92:95] offset:96
	ds_write_b128 v120, v[20:23] offset:144
	ds_write_b128 v120, v[80:83] offset:192
	v_mul_u32_u24_e32 v20, 15, v201
	v_add_lshl_u32 v20, v20, v202, 4
	ds_write_b128 v20, v[116:119]
	buffer_store_dword v20, off, s[28:31], 0 offset:292 ; 4-byte Folded Spill
	ds_write_b128 v20, v[108:111] offset:48
	ds_write_b128 v20, v[100:103] offset:96
	;; [unrolled: 1-line block ×4, first 2 shown]
	v_mad_legacy_u16 v16, v199, 15, v200
	v_lshlrev_b32_e32 v16, 4, v16
	ds_write_b128 v16, v[96:99]
	buffer_store_dword v16, off, s[28:31], 0 offset:32 ; 4-byte Folded Spill
	ds_write_b128 v16, v[84:87] offset:48
	ds_write_b128 v16, v[76:79] offset:96
	;; [unrolled: 1-line block ×4, first 2 shown]
	v_mad_legacy_u16 v12, v197, 15, v198
	v_mul_lo_u16_sdwa v120, v207, s20 dst_sel:DWORD dst_unused:UNUSED_PAD src0_sel:BYTE_0 src1_sel:DWORD
	v_lshlrev_b32_e32 v12, 4, v12
	v_lshrrev_b16_e32 v202, 11, v120
	ds_write_b128 v12, v[72:75]
	buffer_store_dword v12, off, s[28:31], 0 offset:36 ; 4-byte Folded Spill
	ds_write_b128 v12, v[64:67] offset:48
	ds_write_b128 v12, v[60:63] offset:96
	;; [unrolled: 1-line block ×4, first 2 shown]
	v_mad_legacy_u16 v8, v195, 15, v196
	v_mul_lo_u16_e32 v120, 15, v202
	v_add_f64 v[124:125], v[176:177], -v[172:173]
	v_add_f64 v[126:127], v[180:181], -v[184:185]
	v_lshlrev_b32_e32 v8, 4, v8
	v_sub_u16_e32 v120, v207, v120
	v_add_f64 v[124:125], v[124:125], v[126:127]
	ds_write_b128 v8, v[56:59]
	buffer_store_dword v8, off, s[28:31], 0 offset:296 ; 4-byte Folded Spill
	ds_write_b128 v8, v[48:51] offset:48
	ds_write_b128 v8, v[44:47] offset:96
	;; [unrolled: 1-line block ×4, first 2 shown]
	v_mad_legacy_u16 v4, v193, 15, v194
	v_and_b32_e32 v203, 0xff, v120
	v_fmac_f64_e32 v[30:31], s[4:5], v[124:125]
	v_fmac_f64_e32 v[2:3], s[4:5], v[124:125]
	v_lshlrev_b32_e32 v4, 4, v4
	v_lshlrev_b32_e32 v120, 6, v203
	ds_write_b128 v4, v[40:43]
	buffer_store_dword v4, off, s[28:31], 0 offset:540 ; 4-byte Folded Spill
	ds_write_b128 v4, v[32:35] offset:48
	ds_write_b128 v4, v[28:31] offset:96
	;; [unrolled: 1-line block ×4, first 2 shown]
	s_waitcnt lgkmcnt(0)
	s_barrier
	ds_read_b128 v[20:23], v189
	ds_read_b128 v[116:119], v189 offset:12000
	ds_read_b128 v[112:115], v189 offset:24000
	;; [unrolled: 1-line block ×29, first 2 shown]
	global_load_dwordx4 v[130:133], v120, s[10:11] offset:240
	global_load_dwordx4 v[126:129], v120, s[10:11] offset:224
	;; [unrolled: 1-line block ×4, first 2 shown]
	v_mov_b32_e32 v187, s11
	s_waitcnt vmcnt(3)
	v_accvgpr_write_b32 a249, v133
	v_accvgpr_write_b32 a248, v132
	s_waitcnt vmcnt(1)
	v_accvgpr_write_b32 a241, v137
	s_waitcnt vmcnt(0) lgkmcnt(14)
	v_mul_f64 v[120:121], v[118:119], v[140:141]
	v_fma_f64 v[122:123], v[116:117], v[138:139], -v[120:121]
	v_mul_f64 v[120:121], v[116:117], v[140:141]
	v_mul_f64 v[116:117], v[114:115], v[136:137]
	v_fmac_f64_e32 v[120:121], v[118:119], v[138:139]
	v_fma_f64 v[124:125], v[112:113], v[134:135], -v[116:117]
	v_pk_mov_b32 v[116:117], v[126:127], v[126:127] op_sel:[0,1]
	v_mul_f64 v[112:113], v[112:113], v[136:137]
	v_pk_mov_b32 v[118:119], v[128:129], v[128:129] op_sel:[0,1]
	v_fmac_f64_e32 v[112:113], v[114:115], v[134:135]
	v_mul_f64 v[114:115], v[110:111], v[118:119]
	v_fma_f64 v[128:129], v[108:109], v[116:117], -v[114:115]
	v_mul_f64 v[114:115], v[108:109], v[118:119]
	v_mul_f64 v[108:109], v[106:107], v[132:133]
	v_fmac_f64_e32 v[114:115], v[110:111], v[116:117]
	v_fma_f64 v[110:111], v[104:105], v[130:131], -v[108:109]
	v_mul_f64 v[104:105], v[104:105], v[132:133]
	v_fmac_f64_e32 v[104:105], v[106:107], v[130:131]
	v_mul_lo_u16_sdwa v106, v190, s20 dst_sel:DWORD dst_unused:UNUSED_PAD src0_sel:BYTE_0 src1_sel:DWORD
	v_lshrrev_b16_e32 v200, 11, v106
	v_mul_lo_u16_e32 v106, 15, v200
	v_sub_u16_e32 v106, v190, v106
	v_and_b32_e32 v201, 0xff, v106
	v_accvgpr_write_b32 a237, v141
	v_accvgpr_write_b32 a245, v119
	v_lshlrev_b32_e32 v106, 6, v201
	v_accvgpr_write_b32 a236, v140
	v_accvgpr_write_b32 a235, v139
	v_accvgpr_write_b32 a234, v138
	v_accvgpr_write_b32 a240, v136
	v_accvgpr_write_b32 a239, v135
	v_accvgpr_write_b32 a238, v134
	v_accvgpr_write_b32 a244, v118
	v_accvgpr_write_b32 a243, v117
	v_accvgpr_write_b32 a242, v116
	v_accvgpr_write_b32 a247, v131
	v_accvgpr_write_b32 a246, v130
	global_load_dwordx4 v[116:119], v106, s[10:11] offset:240
	global_load_dwordx4 v[134:137], v106, s[10:11] offset:224
	;; [unrolled: 1-line block ×4, first 2 shown]
	s_mov_b32 s20, 0x8889
	s_waitcnt vmcnt(3)
	v_accvgpr_write_b32 a191, v119
	s_waitcnt vmcnt(2)
	v_accvgpr_write_b32 a195, v137
	v_accvgpr_write_b32 a194, v136
	s_waitcnt vmcnt(0)
	v_mul_f64 v[106:107], v[102:103], v[140:141]
	v_mul_f64 v[126:127], v[100:101], v[140:141]
	v_accvgpr_write_b32 a253, v141
	v_fma_f64 v[106:107], v[100:101], v[138:139], -v[106:107]
	v_fmac_f64_e32 v[126:127], v[102:103], v[138:139]
	v_accvgpr_write_b32 a252, v140
	v_accvgpr_write_b32 a251, v139
	v_accvgpr_write_b32 a250, v138
	v_pk_mov_b32 v[140:141], v[132:133], v[132:133] op_sel:[0,1]
	v_pk_mov_b32 v[138:139], v[130:131], v[130:131] op_sel:[0,1]
	v_mul_f64 v[100:101], v[98:99], v[140:141]
	v_fma_f64 v[132:133], v[96:97], v[138:139], -v[100:101]
	v_mul_f64 v[130:131], v[96:97], v[140:141]
	v_mul_f64 v[96:97], v[94:95], v[136:137]
	v_fmac_f64_e32 v[130:131], v[98:99], v[138:139]
	v_fma_f64 v[98:99], v[92:93], v[134:135], -v[96:97]
	v_mul_f64 v[92:93], v[92:93], v[136:137]
	v_accvgpr_write_b32 a199, v141
	v_fmac_f64_e32 v[92:93], v[94:95], v[134:135]
	v_mul_f64 v[94:95], v[90:91], v[118:119]
	v_accvgpr_write_b32 a198, v140
	v_accvgpr_write_b32 a197, v139
	;; [unrolled: 1-line block ×3, first 2 shown]
	v_fma_f64 v[138:139], v[88:89], v[116:117], -v[94:95]
	v_mul_f64 v[94:95], v[88:89], v[118:119]
	v_mul_u32_u24_sdwa v88, v191, s20 dst_sel:DWORD dst_unused:UNUSED_PAD src0_sel:WORD_0 src1_sel:DWORD
	v_lshrrev_b32_e32 v198, 19, v88
	v_mul_lo_u16_e32 v88, 15, v198
	v_sub_u16_e32 v199, v191, v88
	v_lshlrev_b16_e32 v88, 6, v199
	v_add_co_u32_e32 v88, vcc, s10, v88
	v_addc_co_u32_e32 v89, vcc, 0, v187, vcc
	v_accvgpr_write_b32 a193, v135
	v_accvgpr_write_b32 a192, v134
	v_fmac_f64_e32 v[94:95], v[90:91], v[116:117]
	v_accvgpr_write_b32 a190, v118
	v_accvgpr_write_b32 a189, v117
	v_accvgpr_write_b32 a188, v116
	global_load_dwordx4 v[100:103], v[88:89], off offset:240
	global_load_dwordx4 v[116:119], v[88:89], off offset:224
	;; [unrolled: 1-line block ×4, first 2 shown]
	s_waitcnt vmcnt(3)
	v_accvgpr_write_b32 a175, v103
	v_accvgpr_write_b32 a174, v102
	v_accvgpr_write_b32 a173, v101
	s_waitcnt vmcnt(0)
	v_mul_f64 v[88:89], v[86:87], v[136:137]
	v_fma_f64 v[140:141], v[84:85], v[134:135], -v[88:89]
	v_pk_mov_b32 v[88:89], v[134:135], v[134:135] op_sel:[0,1]
	v_pk_mov_b32 v[90:91], v[136:137], v[136:137] op_sel:[0,1]
	v_mul_f64 v[134:135], v[84:85], v[90:91]
	v_accvgpr_write_b32 a187, v91
	v_fmac_f64_e32 v[134:135], v[86:87], v[88:89]
	v_accvgpr_write_b32 a186, v90
	v_accvgpr_write_b32 a185, v89
	;; [unrolled: 1-line block ×3, first 2 shown]
	v_pk_mov_b32 v[86:87], v[142:143], v[142:143] op_sel:[0,1]
	v_pk_mov_b32 v[88:89], v[144:145], v[144:145] op_sel:[0,1]
	v_mul_f64 v[84:85], v[82:83], v[88:89]
	v_fma_f64 v[144:145], v[80:81], v[86:87], -v[84:85]
	v_mul_f64 v[136:137], v[80:81], v[88:89]
	v_mul_f64 v[80:81], v[78:79], v[118:119]
	v_fma_f64 v[148:149], v[76:77], v[116:117], -v[80:81]
	v_mul_f64 v[142:143], v[76:77], v[118:119]
	v_mul_f64 v[76:77], v[74:75], v[102:103]
	v_fmac_f64_e32 v[142:143], v[78:79], v[116:117]
	v_fma_f64 v[78:79], v[72:73], v[100:101], -v[76:77]
	v_mul_f64 v[72:73], v[72:73], v[102:103]
	v_fmac_f64_e32 v[72:73], v[74:75], v[100:101]
	v_mul_u32_u24_sdwa v74, v192, s20 dst_sel:DWORD dst_unused:UNUSED_PAD src0_sel:WORD_0 src1_sel:DWORD
	v_lshrrev_b32_e32 v196, 19, v74
	v_mul_lo_u16_e32 v74, 15, v196
	v_sub_u16_e32 v197, v192, v74
	v_lshlrev_b16_e32 v74, 6, v197
	v_add_co_u32_e32 v74, vcc, s10, v74
	v_accvgpr_write_b32 a183, v89
	v_addc_co_u32_e32 v75, vcc, 0, v187, vcc
	v_fmac_f64_e32 v[136:137], v[82:83], v[86:87]
	v_accvgpr_write_b32 a182, v88
	v_accvgpr_write_b32 a181, v87
	;; [unrolled: 1-line block ×4, first 2 shown]
	global_load_dwordx4 v[80:83], v[74:75], off offset:240
	global_load_dwordx4 v[84:87], v[74:75], off offset:224
	;; [unrolled: 1-line block ×4, first 2 shown]
	v_accvgpr_write_b32 a179, v119
	v_accvgpr_write_b32 a178, v118
	;; [unrolled: 1-line block ×4, first 2 shown]
	s_waitcnt vmcnt(3)
	v_accvgpr_write_b32 a159, v83
	s_waitcnt vmcnt(2) lgkmcnt(11)
	v_mul_f64 v[154:155], v[60:61], v[86:87]
	s_waitcnt vmcnt(1)
	v_mul_f64 v[150:151], v[64:65], v[90:91]
	s_waitcnt vmcnt(0)
	v_mul_f64 v[74:75], v[70:71], v[102:103]
	v_fma_f64 v[152:153], v[68:69], v[100:101], -v[74:75]
	v_mul_f64 v[146:147], v[68:69], v[102:103]
	v_mul_f64 v[68:69], v[66:67], v[90:91]
	v_fma_f64 v[156:157], v[64:65], v[88:89], -v[68:69]
	v_mul_f64 v[64:65], v[62:63], v[86:87]
	v_fma_f64 v[160:161], v[60:61], v[84:85], -v[64:65]
	s_waitcnt lgkmcnt(10)
	v_mul_f64 v[60:61], v[58:59], v[82:83]
	v_fmac_f64_e32 v[154:155], v[62:63], v[84:85]
	v_fma_f64 v[62:63], v[56:57], v[80:81], -v[60:61]
	v_mul_f64 v[56:57], v[56:57], v[82:83]
	v_fmac_f64_e32 v[56:57], v[58:59], v[80:81]
	v_mul_u32_u24_sdwa v58, v214, s20 dst_sel:DWORD dst_unused:UNUSED_PAD src0_sel:WORD_0 src1_sel:DWORD
	v_lshrrev_b32_e32 v194, 19, v58
	v_mul_lo_u16_e32 v58, 15, v194
	v_sub_u16_e32 v195, v214, v58
	v_lshlrev_b16_e32 v58, 6, v195
	v_add_co_u32_e32 v58, vcc, s10, v58
	v_addc_co_u32_e32 v59, vcc, 0, v187, vcc
	v_fmac_f64_e32 v[146:147], v[70:71], v[100:101]
	v_fmac_f64_e32 v[150:151], v[66:67], v[88:89]
	v_accvgpr_write_b32 a158, v82
	v_accvgpr_write_b32 a157, v81
	;; [unrolled: 1-line block ×3, first 2 shown]
	global_load_dwordx4 v[64:67], v[58:59], off offset:240
	global_load_dwordx4 v[68:71], v[58:59], off offset:224
	;; [unrolled: 1-line block ×4, first 2 shown]
	v_accvgpr_write_b32 a167, v91
	v_accvgpr_write_b32 a166, v90
	;; [unrolled: 1-line block ×12, first 2 shown]
	s_waitcnt vmcnt(3)
	v_accvgpr_write_b32 a143, v67
	s_waitcnt vmcnt(2) lgkmcnt(6)
	v_mul_f64 v[166:167], v[44:45], v[70:71]
	s_waitcnt vmcnt(1)
	v_mul_f64 v[162:163], v[48:49], v[76:77]
	s_waitcnt vmcnt(0)
	v_mul_f64 v[58:59], v[54:55], v[82:83]
	v_fma_f64 v[164:165], v[52:53], v[80:81], -v[58:59]
	v_mul_f64 v[158:159], v[52:53], v[82:83]
	v_mul_f64 v[52:53], v[50:51], v[76:77]
	v_fma_f64 v[168:169], v[48:49], v[74:75], -v[52:53]
	v_mul_f64 v[48:49], v[46:47], v[70:71]
	v_fma_f64 v[172:173], v[44:45], v[68:69], -v[48:49]
	s_waitcnt lgkmcnt(5)
	v_mul_f64 v[44:45], v[42:43], v[66:67]
	v_fmac_f64_e32 v[166:167], v[46:47], v[68:69]
	v_fma_f64 v[46:47], v[40:41], v[64:65], -v[44:45]
	v_mul_f64 v[40:41], v[40:41], v[66:67]
	v_fmac_f64_e32 v[40:41], v[42:43], v[64:65]
	v_mul_u32_u24_sdwa v42, v215, s20 dst_sel:DWORD dst_unused:UNUSED_PAD src0_sel:WORD_0 src1_sel:DWORD
	v_lshrrev_b32_e32 v186, 19, v42
	v_mul_lo_u16_e32 v42, 15, v186
	v_sub_u16_e32 v193, v215, v42
	v_lshlrev_b16_e32 v42, 6, v193
	v_add_co_u32_e32 v42, vcc, s10, v42
	v_addc_co_u32_e32 v43, vcc, 0, v187, vcc
	v_fmac_f64_e32 v[158:159], v[54:55], v[80:81]
	v_fmac_f64_e32 v[162:163], v[50:51], v[74:75]
	global_load_dwordx4 v[48:51], v[42:43], off offset:240
	global_load_dwordx4 v[52:55], v[42:43], off offset:224
	;; [unrolled: 1-line block ×4, first 2 shown]
	v_accvgpr_write_b32 a147, v71
	v_accvgpr_write_b32 a155, v83
	;; [unrolled: 1-line block ×15, first 2 shown]
	s_waitcnt lgkmcnt(0)
	s_barrier
	s_movk_i32 s20, 0x4b
	v_cmp_gt_u16_e32 vcc, s20, v207
	s_waitcnt vmcnt(3)
	v_mul_f64 v[182:183], v[24:25], v[50:51]
	s_waitcnt vmcnt(2)
	v_mul_f64 v[178:179], v[28:29], v[54:55]
	;; [unrolled: 2-line block ×4, first 2 shown]
	v_fma_f64 v[176:177], v[36:37], v[228:229], -v[42:43]
	v_mul_f64 v[170:171], v[36:37], v[230:231]
	v_mul_f64 v[36:37], v[34:35], v[60:61]
	v_fma_f64 v[180:181], v[32:33], v[58:59], -v[36:37]
	v_mul_f64 v[32:33], v[30:31], v[54:55]
	v_fma_f64 v[184:185], v[28:29], v[52:53], -v[32:33]
	v_mul_f64 v[28:29], v[26:27], v[50:51]
	v_fmac_f64_e32 v[178:179], v[30:31], v[52:53]
	v_fma_f64 v[30:31], v[24:25], v[48:49], -v[28:29]
	v_add_f64 v[24:25], v[20:21], v[122:123]
	v_add_f64 v[24:25], v[24:25], v[124:125]
	;; [unrolled: 1-line block ×5, first 2 shown]
	v_fma_f64 v[88:89], -0.5, v[24:25], v[20:21]
	v_add_f64 v[24:25], v[120:121], -v[104:105]
	v_fmac_f64_e32 v[182:183], v[26:27], v[48:49]
	v_fma_f64 v[108:109], s[2:3], v[24:25], v[88:89]
	v_add_f64 v[26:27], v[112:113], -v[114:115]
	v_add_f64 v[28:29], v[122:123], -v[124:125]
	v_add_f64 v[32:33], v[110:111], -v[128:129]
	v_fmac_f64_e32 v[88:89], s[14:15], v[24:25]
	v_fmac_f64_e32 v[108:109], s[6:7], v[26:27]
	v_add_f64 v[28:29], v[28:29], v[32:33]
	v_fmac_f64_e32 v[88:89], s[8:9], v[26:27]
	v_fmac_f64_e32 v[108:109], s[4:5], v[28:29]
	v_fmac_f64_e32 v[88:89], s[4:5], v[28:29]
	v_add_f64 v[28:29], v[122:123], v[110:111]
	v_fmac_f64_e32 v[20:21], -0.5, v[28:29]
	v_fma_f64 v[100:101], s[14:15], v[26:27], v[20:21]
	v_fmac_f64_e32 v[20:21], s[2:3], v[26:27]
	v_fmac_f64_e32 v[100:101], s[6:7], v[24:25]
	v_fmac_f64_e32 v[20:21], s[8:9], v[24:25]
	v_add_f64 v[24:25], v[22:23], v[120:121]
	v_add_f64 v[24:25], v[24:25], v[112:113]
	v_add_f64 v[24:25], v[24:25], v[114:115]
	v_add_f64 v[28:29], v[124:125], -v[122:123]
	v_add_f64 v[32:33], v[128:129], -v[110:111]
	v_add_f64 v[118:119], v[24:25], v[104:105]
	v_add_f64 v[24:25], v[112:113], v[114:115]
	v_add_f64 v[28:29], v[28:29], v[32:33]
	v_fma_f64 v[90:91], -0.5, v[24:25], v[22:23]
	v_add_f64 v[24:25], v[122:123], -v[110:111]
	v_fmac_f64_e32 v[100:101], s[4:5], v[28:29]
	v_fmac_f64_e32 v[20:21], s[4:5], v[28:29]
	v_fma_f64 v[110:111], s[14:15], v[24:25], v[90:91]
	v_add_f64 v[26:27], v[124:125], -v[128:129]
	v_add_f64 v[28:29], v[120:121], -v[112:113]
	v_add_f64 v[32:33], v[104:105], -v[114:115]
	v_fmac_f64_e32 v[90:91], s[2:3], v[24:25]
	v_fmac_f64_e32 v[110:111], s[8:9], v[26:27]
	v_add_f64 v[28:29], v[28:29], v[32:33]
	v_fmac_f64_e32 v[90:91], s[6:7], v[26:27]
	v_fmac_f64_e32 v[110:111], s[4:5], v[28:29]
	v_fmac_f64_e32 v[90:91], s[4:5], v[28:29]
	v_add_f64 v[28:29], v[120:121], v[104:105]
	v_fmac_f64_e32 v[22:23], -0.5, v[28:29]
	v_fma_f64 v[102:103], s[2:3], v[26:27], v[22:23]
	v_fmac_f64_e32 v[22:23], s[14:15], v[26:27]
	v_fmac_f64_e32 v[102:103], s[8:9], v[24:25]
	v_fmac_f64_e32 v[22:23], s[6:7], v[24:25]
	v_add_f64 v[24:25], v[16:17], v[106:107]
	v_add_f64 v[24:25], v[24:25], v[132:133]
	v_add_f64 v[24:25], v[24:25], v[98:99]
	v_add_f64 v[28:29], v[112:113], -v[120:121]
	v_add_f64 v[32:33], v[114:115], -v[104:105]
	v_add_f64 v[112:113], v[24:25], v[138:139]
	v_add_f64 v[24:25], v[132:133], v[98:99]
	v_add_f64 v[28:29], v[28:29], v[32:33]
	v_fma_f64 v[84:85], -0.5, v[24:25], v[16:17]
	v_add_f64 v[24:25], v[126:127], -v[94:95]
	v_fmac_f64_e32 v[102:103], s[4:5], v[28:29]
	v_fmac_f64_e32 v[22:23], s[4:5], v[28:29]
	v_fma_f64 v[104:105], s[2:3], v[24:25], v[84:85]
	v_add_f64 v[26:27], v[130:131], -v[92:93]
	v_add_f64 v[28:29], v[106:107], -v[132:133]
	v_add_f64 v[32:33], v[138:139], -v[98:99]
	v_fmac_f64_e32 v[84:85], s[14:15], v[24:25]
	v_fmac_f64_e32 v[104:105], s[6:7], v[26:27]
	v_add_f64 v[28:29], v[28:29], v[32:33]
	v_fmac_f64_e32 v[84:85], s[8:9], v[26:27]
	v_fmac_f64_e32 v[104:105], s[4:5], v[28:29]
	v_fmac_f64_e32 v[84:85], s[4:5], v[28:29]
	v_add_f64 v[28:29], v[106:107], v[138:139]
	v_fmac_f64_e32 v[16:17], -0.5, v[28:29]
	v_fma_f64 v[96:97], s[14:15], v[26:27], v[16:17]
	v_fmac_f64_e32 v[16:17], s[2:3], v[26:27]
	v_fmac_f64_e32 v[96:97], s[6:7], v[24:25]
	v_fmac_f64_e32 v[16:17], s[8:9], v[24:25]
	v_add_f64 v[24:25], v[18:19], v[126:127]
	v_add_f64 v[24:25], v[24:25], v[130:131]
	v_add_f64 v[24:25], v[24:25], v[92:93]
	v_add_f64 v[28:29], v[132:133], -v[106:107]
	v_add_f64 v[32:33], v[98:99], -v[138:139]
	v_add_f64 v[114:115], v[24:25], v[94:95]
	v_add_f64 v[24:25], v[130:131], v[92:93]
	v_add_f64 v[28:29], v[28:29], v[32:33]
	v_fma_f64 v[86:87], -0.5, v[24:25], v[18:19]
	v_add_f64 v[24:25], v[106:107], -v[138:139]
	v_fmac_f64_e32 v[96:97], s[4:5], v[28:29]
	v_fmac_f64_e32 v[16:17], s[4:5], v[28:29]
	v_fma_f64 v[106:107], s[14:15], v[24:25], v[86:87]
	v_add_f64 v[26:27], v[132:133], -v[98:99]
	v_add_f64 v[28:29], v[126:127], -v[130:131]
	v_add_f64 v[32:33], v[94:95], -v[92:93]
	v_fmac_f64_e32 v[86:87], s[2:3], v[24:25]
	v_fmac_f64_e32 v[106:107], s[8:9], v[26:27]
	v_add_f64 v[28:29], v[28:29], v[32:33]
	v_fmac_f64_e32 v[86:87], s[6:7], v[26:27]
	v_fmac_f64_e32 v[106:107], s[4:5], v[28:29]
	v_fmac_f64_e32 v[86:87], s[4:5], v[28:29]
	v_add_f64 v[28:29], v[126:127], v[94:95]
	v_fmac_f64_e32 v[18:19], -0.5, v[28:29]
	v_fma_f64 v[98:99], s[2:3], v[26:27], v[18:19]
	v_fmac_f64_e32 v[18:19], s[14:15], v[26:27]
	v_fmac_f64_e32 v[98:99], s[8:9], v[24:25]
	v_fmac_f64_e32 v[18:19], s[6:7], v[24:25]
	v_add_f64 v[24:25], v[12:13], v[140:141]
	v_add_f64 v[24:25], v[24:25], v[144:145]
	v_add_f64 v[24:25], v[24:25], v[148:149]
	v_add_f64 v[28:29], v[130:131], -v[126:127]
	v_add_f64 v[32:33], v[92:93], -v[94:95]
	v_add_f64 v[92:93], v[24:25], v[78:79]
	v_add_f64 v[24:25], v[144:145], v[148:149]
	v_add_f64 v[28:29], v[28:29], v[32:33]
	v_fma_f64 v[68:69], -0.5, v[24:25], v[12:13]
	v_add_f64 v[24:25], v[134:135], -v[72:73]
	v_fmac_f64_e32 v[98:99], s[4:5], v[28:29]
	v_fmac_f64_e32 v[18:19], s[4:5], v[28:29]
	v_fma_f64 v[80:81], s[2:3], v[24:25], v[68:69]
	v_add_f64 v[26:27], v[136:137], -v[142:143]
	v_add_f64 v[28:29], v[140:141], -v[144:145]
	v_add_f64 v[32:33], v[78:79], -v[148:149]
	v_fmac_f64_e32 v[68:69], s[14:15], v[24:25]
	v_fmac_f64_e32 v[80:81], s[6:7], v[26:27]
	v_add_f64 v[28:29], v[28:29], v[32:33]
	v_fmac_f64_e32 v[68:69], s[8:9], v[26:27]
	v_fmac_f64_e32 v[80:81], s[4:5], v[28:29]
	v_fmac_f64_e32 v[68:69], s[4:5], v[28:29]
	v_add_f64 v[28:29], v[140:141], v[78:79]
	v_fmac_f64_e32 v[12:13], -0.5, v[28:29]
	v_fma_f64 v[76:77], s[14:15], v[26:27], v[12:13]
	v_fmac_f64_e32 v[12:13], s[2:3], v[26:27]
	v_fmac_f64_e32 v[76:77], s[6:7], v[24:25]
	v_fmac_f64_e32 v[12:13], s[8:9], v[24:25]
	v_add_f64 v[24:25], v[14:15], v[134:135]
	v_add_f64 v[24:25], v[24:25], v[136:137]
	v_add_f64 v[24:25], v[24:25], v[142:143]
	v_add_f64 v[28:29], v[144:145], -v[140:141]
	v_add_f64 v[32:33], v[148:149], -v[78:79]
	v_add_f64 v[94:95], v[24:25], v[72:73]
	v_add_f64 v[24:25], v[136:137], v[142:143]
	v_add_f64 v[28:29], v[28:29], v[32:33]
	v_fma_f64 v[70:71], -0.5, v[24:25], v[14:15]
	v_add_f64 v[24:25], v[140:141], -v[78:79]
	v_fmac_f64_e32 v[76:77], s[4:5], v[28:29]
	v_fmac_f64_e32 v[12:13], s[4:5], v[28:29]
	v_fma_f64 v[82:83], s[14:15], v[24:25], v[70:71]
	v_add_f64 v[26:27], v[144:145], -v[148:149]
	v_add_f64 v[28:29], v[134:135], -v[136:137]
	;; [unrolled: 1-line block ×3, first 2 shown]
	v_fmac_f64_e32 v[70:71], s[2:3], v[24:25]
	v_fmac_f64_e32 v[82:83], s[8:9], v[26:27]
	v_add_f64 v[28:29], v[28:29], v[32:33]
	v_fmac_f64_e32 v[70:71], s[6:7], v[26:27]
	v_fmac_f64_e32 v[82:83], s[4:5], v[28:29]
	v_fmac_f64_e32 v[70:71], s[4:5], v[28:29]
	v_add_f64 v[28:29], v[134:135], v[72:73]
	v_fmac_f64_e32 v[14:15], -0.5, v[28:29]
	v_fma_f64 v[78:79], s[2:3], v[26:27], v[14:15]
	v_fmac_f64_e32 v[14:15], s[14:15], v[26:27]
	v_fmac_f64_e32 v[78:79], s[8:9], v[24:25]
	;; [unrolled: 1-line block ×3, first 2 shown]
	v_add_f64 v[24:25], v[8:9], v[152:153]
	v_add_f64 v[24:25], v[24:25], v[156:157]
	;; [unrolled: 1-line block ×3, first 2 shown]
	v_accvgpr_write_b32 a135, v55
	v_add_f64 v[28:29], v[136:137], -v[134:135]
	v_add_f64 v[32:33], v[142:143], -v[72:73]
	v_add_f64 v[72:73], v[24:25], v[62:63]
	v_add_f64 v[24:25], v[156:157], v[160:161]
	v_accvgpr_write_b32 a134, v54
	v_accvgpr_write_b32 a133, v53
	;; [unrolled: 1-line block ×3, first 2 shown]
	v_add_f64 v[28:29], v[28:29], v[32:33]
	v_fma_f64 v[52:53], -0.5, v[24:25], v[8:9]
	v_add_f64 v[24:25], v[146:147], -v[56:57]
	v_fmac_f64_e32 v[78:79], s[4:5], v[28:29]
	v_fmac_f64_e32 v[14:15], s[4:5], v[28:29]
	v_fma_f64 v[64:65], s[2:3], v[24:25], v[52:53]
	v_add_f64 v[26:27], v[150:151], -v[154:155]
	v_add_f64 v[28:29], v[152:153], -v[156:157]
	;; [unrolled: 1-line block ×3, first 2 shown]
	v_fmac_f64_e32 v[52:53], s[14:15], v[24:25]
	v_fmac_f64_e32 v[64:65], s[6:7], v[26:27]
	v_add_f64 v[28:29], v[28:29], v[32:33]
	v_fmac_f64_e32 v[52:53], s[8:9], v[26:27]
	v_fmac_f64_e32 v[64:65], s[4:5], v[28:29]
	;; [unrolled: 1-line block ×3, first 2 shown]
	v_add_f64 v[28:29], v[152:153], v[62:63]
	v_accvgpr_write_b32 a139, v61
	v_fmac_f64_e32 v[8:9], -0.5, v[28:29]
	v_accvgpr_write_b32 a138, v60
	v_accvgpr_write_b32 a137, v59
	;; [unrolled: 1-line block ×3, first 2 shown]
	v_fma_f64 v[60:61], s[14:15], v[26:27], v[8:9]
	v_fmac_f64_e32 v[8:9], s[2:3], v[26:27]
	v_fmac_f64_e32 v[60:61], s[6:7], v[24:25]
	;; [unrolled: 1-line block ×3, first 2 shown]
	v_add_f64 v[24:25], v[10:11], v[146:147]
	v_add_f64 v[24:25], v[24:25], v[150:151]
	;; [unrolled: 1-line block ×3, first 2 shown]
	v_add_f64 v[28:29], v[156:157], -v[152:153]
	v_add_f64 v[32:33], v[160:161], -v[62:63]
	v_add_f64 v[74:75], v[24:25], v[56:57]
	v_add_f64 v[24:25], v[150:151], v[154:155]
	;; [unrolled: 1-line block ×3, first 2 shown]
	v_fma_f64 v[54:55], -0.5, v[24:25], v[10:11]
	v_add_f64 v[24:25], v[152:153], -v[62:63]
	v_fmac_f64_e32 v[60:61], s[4:5], v[28:29]
	v_fmac_f64_e32 v[8:9], s[4:5], v[28:29]
	v_fma_f64 v[66:67], s[14:15], v[24:25], v[54:55]
	v_add_f64 v[26:27], v[156:157], -v[160:161]
	v_add_f64 v[28:29], v[146:147], -v[150:151]
	;; [unrolled: 1-line block ×3, first 2 shown]
	v_fmac_f64_e32 v[54:55], s[2:3], v[24:25]
	v_fmac_f64_e32 v[66:67], s[8:9], v[26:27]
	v_add_f64 v[28:29], v[28:29], v[32:33]
	v_fmac_f64_e32 v[54:55], s[6:7], v[26:27]
	v_fmac_f64_e32 v[66:67], s[4:5], v[28:29]
	;; [unrolled: 1-line block ×3, first 2 shown]
	v_add_f64 v[28:29], v[146:147], v[56:57]
	v_fmac_f64_e32 v[10:11], -0.5, v[28:29]
	v_fma_f64 v[62:63], s[2:3], v[26:27], v[10:11]
	v_fmac_f64_e32 v[10:11], s[14:15], v[26:27]
	v_fmac_f64_e32 v[62:63], s[8:9], v[24:25]
	;; [unrolled: 1-line block ×3, first 2 shown]
	v_add_f64 v[24:25], v[4:5], v[164:165]
	v_add_f64 v[24:25], v[24:25], v[168:169]
	;; [unrolled: 1-line block ×3, first 2 shown]
	v_add_f64 v[28:29], v[150:151], -v[146:147]
	v_add_f64 v[32:33], v[154:155], -v[56:57]
	v_add_f64 v[56:57], v[24:25], v[46:47]
	v_add_f64 v[24:25], v[168:169], v[172:173]
	v_accvgpr_write_b32 a131, v51
	v_add_f64 v[28:29], v[28:29], v[32:33]
	v_fma_f64 v[36:37], -0.5, v[24:25], v[4:5]
	v_add_f64 v[24:25], v[158:159], -v[40:41]
	v_accvgpr_write_b32 a130, v50
	v_accvgpr_write_b32 a129, v49
	v_accvgpr_write_b32 a128, v48
	v_fmac_f64_e32 v[62:63], s[4:5], v[28:29]
	v_fmac_f64_e32 v[10:11], s[4:5], v[28:29]
	v_fma_f64 v[48:49], s[2:3], v[24:25], v[36:37]
	v_add_f64 v[26:27], v[162:163], -v[166:167]
	v_add_f64 v[28:29], v[164:165], -v[168:169]
	;; [unrolled: 1-line block ×3, first 2 shown]
	v_fmac_f64_e32 v[36:37], s[14:15], v[24:25]
	v_fmac_f64_e32 v[48:49], s[6:7], v[26:27]
	v_add_f64 v[28:29], v[28:29], v[32:33]
	v_fmac_f64_e32 v[36:37], s[8:9], v[26:27]
	v_fmac_f64_e32 v[48:49], s[4:5], v[28:29]
	;; [unrolled: 1-line block ×3, first 2 shown]
	v_add_f64 v[28:29], v[164:165], v[46:47]
	v_fmac_f64_e32 v[4:5], -0.5, v[28:29]
	v_fma_f64 v[44:45], s[14:15], v[26:27], v[4:5]
	v_fmac_f64_e32 v[4:5], s[2:3], v[26:27]
	v_fmac_f64_e32 v[44:45], s[6:7], v[24:25]
	v_fmac_f64_e32 v[4:5], s[8:9], v[24:25]
	v_add_f64 v[24:25], v[6:7], v[158:159]
	v_add_f64 v[24:25], v[24:25], v[162:163]
	v_add_f64 v[24:25], v[24:25], v[166:167]
	v_fmac_f64_e32 v[174:175], v[34:35], v[58:59]
	v_add_f64 v[28:29], v[168:169], -v[164:165]
	v_add_f64 v[32:33], v[172:173], -v[46:47]
	v_add_f64 v[58:59], v[24:25], v[40:41]
	v_add_f64 v[24:25], v[162:163], v[166:167]
	v_fmac_f64_e32 v[170:171], v[38:39], v[228:229]
	v_add_f64 v[28:29], v[28:29], v[32:33]
	v_fma_f64 v[38:39], -0.5, v[24:25], v[6:7]
	v_add_f64 v[24:25], v[164:165], -v[46:47]
	v_fmac_f64_e32 v[44:45], s[4:5], v[28:29]
	v_fmac_f64_e32 v[4:5], s[4:5], v[28:29]
	v_fma_f64 v[50:51], s[14:15], v[24:25], v[38:39]
	v_add_f64 v[26:27], v[168:169], -v[172:173]
	v_add_f64 v[28:29], v[158:159], -v[162:163]
	;; [unrolled: 1-line block ×3, first 2 shown]
	v_fmac_f64_e32 v[38:39], s[2:3], v[24:25]
	v_fmac_f64_e32 v[50:51], s[8:9], v[26:27]
	v_add_f64 v[28:29], v[28:29], v[32:33]
	v_fmac_f64_e32 v[38:39], s[6:7], v[26:27]
	v_fmac_f64_e32 v[50:51], s[4:5], v[28:29]
	;; [unrolled: 1-line block ×3, first 2 shown]
	v_add_f64 v[28:29], v[158:159], v[40:41]
	v_fmac_f64_e32 v[6:7], -0.5, v[28:29]
	v_fma_f64 v[46:47], s[2:3], v[26:27], v[6:7]
	v_fmac_f64_e32 v[6:7], s[14:15], v[26:27]
	v_fmac_f64_e32 v[46:47], s[8:9], v[24:25]
	;; [unrolled: 1-line block ×3, first 2 shown]
	v_add_f64 v[24:25], v[0:1], v[176:177]
	v_add_f64 v[24:25], v[24:25], v[180:181]
	;; [unrolled: 1-line block ×3, first 2 shown]
	v_add_f64 v[28:29], v[162:163], -v[158:159]
	v_add_f64 v[32:33], v[166:167], -v[40:41]
	v_add_f64 v[40:41], v[24:25], v[30:31]
	v_add_f64 v[24:25], v[180:181], v[184:185]
	;; [unrolled: 1-line block ×3, first 2 shown]
	v_fma_f64 v[24:25], -0.5, v[24:25], v[0:1]
	v_add_f64 v[26:27], v[170:171], -v[182:183]
	v_fmac_f64_e32 v[46:47], s[4:5], v[28:29]
	v_fmac_f64_e32 v[6:7], s[4:5], v[28:29]
	v_fma_f64 v[32:33], s[2:3], v[26:27], v[24:25]
	v_add_f64 v[34:35], v[174:175], -v[178:179]
	v_add_f64 v[28:29], v[176:177], -v[180:181]
	;; [unrolled: 1-line block ×3, first 2 shown]
	v_fmac_f64_e32 v[24:25], s[14:15], v[26:27]
	v_fmac_f64_e32 v[32:33], s[6:7], v[34:35]
	v_add_f64 v[28:29], v[28:29], v[42:43]
	v_fmac_f64_e32 v[24:25], s[8:9], v[34:35]
	v_fmac_f64_e32 v[32:33], s[4:5], v[28:29]
	;; [unrolled: 1-line block ×3, first 2 shown]
	v_add_f64 v[28:29], v[176:177], v[30:31]
	v_fmac_f64_e32 v[0:1], -0.5, v[28:29]
	v_fma_f64 v[28:29], s[14:15], v[34:35], v[0:1]
	v_fmac_f64_e32 v[0:1], s[2:3], v[34:35]
	v_fmac_f64_e32 v[28:29], s[6:7], v[26:27]
	;; [unrolled: 1-line block ×3, first 2 shown]
	v_add_f64 v[26:27], v[2:3], v[170:171]
	v_add_f64 v[42:43], v[180:181], -v[176:177]
	v_add_f64 v[120:121], v[184:185], -v[30:31]
	v_add_f64 v[26:27], v[26:27], v[174:175]
	v_add_f64 v[42:43], v[42:43], v[120:121]
	v_add_f64 v[26:27], v[26:27], v[178:179]
	v_fmac_f64_e32 v[28:29], s[4:5], v[42:43]
	v_fmac_f64_e32 v[0:1], s[4:5], v[42:43]
	v_add_f64 v[42:43], v[26:27], v[182:183]
	v_add_f64 v[26:27], v[174:175], v[178:179]
	v_fma_f64 v[26:27], -0.5, v[26:27], v[2:3]
	v_add_f64 v[120:121], v[176:177], -v[30:31]
	v_fma_f64 v[34:35], s[14:15], v[120:121], v[26:27]
	v_add_f64 v[122:123], v[180:181], -v[184:185]
	v_add_f64 v[30:31], v[170:171], -v[174:175]
	;; [unrolled: 1-line block ×3, first 2 shown]
	v_fmac_f64_e32 v[26:27], s[2:3], v[120:121]
	v_fmac_f64_e32 v[34:35], s[8:9], v[122:123]
	v_add_f64 v[30:31], v[30:31], v[124:125]
	v_fmac_f64_e32 v[26:27], s[6:7], v[122:123]
	v_fmac_f64_e32 v[34:35], s[4:5], v[30:31]
	v_fmac_f64_e32 v[26:27], s[4:5], v[30:31]
	v_add_f64 v[30:31], v[170:171], v[182:183]
	v_fmac_f64_e32 v[2:3], -0.5, v[30:31]
	v_fma_f64 v[30:31], s[2:3], v[122:123], v[2:3]
	v_fmac_f64_e32 v[2:3], s[14:15], v[122:123]
	v_fmac_f64_e32 v[30:31], s[8:9], v[120:121]
	v_fmac_f64_e32 v[2:3], s[6:7], v[120:121]
	v_mul_u32_u24_e32 v120, 0x4b, v202
	v_add_lshl_u32 v120, v120, v203, 4
	ds_write_b128 v120, v[116:119]
	ds_write_b128 v120, v[108:111] offset:240
	ds_write_b128 v120, v[100:103] offset:480
	;; [unrolled: 1-line block ×4, first 2 shown]
	v_mul_u32_u24_e32 v20, 0x4b, v200
	v_add_lshl_u32 v20, v20, v201, 4
	ds_write_b128 v20, v[112:115]
	ds_write_b128 v20, v[104:107] offset:240
	ds_write_b128 v20, v[96:99] offset:480
	;; [unrolled: 1-line block ×4, first 2 shown]
	v_mad_legacy_u16 v16, v198, s20, v199
	v_lshlrev_b32_e32 v16, 4, v16
	ds_write_b128 v16, v[92:95]
	buffer_store_dword v16, off, s[28:31], 0 offset:544 ; 4-byte Folded Spill
	ds_write_b128 v16, v[80:83] offset:240
	ds_write_b128 v16, v[76:79] offset:480
	;; [unrolled: 1-line block ×4, first 2 shown]
	v_mad_legacy_u16 v12, v196, s20, v197
	v_accvgpr_write_b32 a255, v120
	v_lshlrev_b32_e32 v12, 4, v12
	v_add_u32_e32 v120, 0xffffffb5, v207
	ds_write_b128 v12, v[72:75]
	buffer_store_dword v12, off, s[28:31], 0 offset:548 ; 4-byte Folded Spill
	ds_write_b128 v12, v[64:67] offset:240
	ds_write_b128 v12, v[60:63] offset:480
	;; [unrolled: 1-line block ×4, first 2 shown]
	v_mad_legacy_u16 v8, v194, s20, v195
	v_cndmask_b32_e32 v160, v120, v207, vcc
	v_add_f64 v[124:125], v[174:175], -v[170:171]
	v_add_f64 v[126:127], v[178:179], -v[182:183]
	v_lshlrev_b32_e32 v8, 4, v8
	v_mul_i32_i24_e32 v120, 0x90, v160
	v_add_f64 v[124:125], v[124:125], v[126:127]
	ds_write_b128 v8, v[56:59]
	buffer_store_dword v8, off, s[28:31], 0 offset:552 ; 4-byte Folded Spill
	ds_write_b128 v8, v[48:51] offset:240
	ds_write_b128 v8, v[44:47] offset:480
	;; [unrolled: 1-line block ×4, first 2 shown]
	v_mad_legacy_u16 v4, v186, s20, v193
	v_mul_hi_i32_i24_e32 v121, 0x90, v160
	v_add_co_u32_e32 v120, vcc, s10, v120
	v_fmac_f64_e32 v[30:31], s[4:5], v[124:125]
	v_fmac_f64_e32 v[2:3], s[4:5], v[124:125]
	v_lshlrev_b32_e32 v206, 4, v4
	v_addc_co_u32_e32 v121, vcc, v187, v121, vcc
	v_accvgpr_write_b32 a254, v20
	ds_write_b128 v206, v[40:43]
	ds_write_b128 v206, v[32:35] offset:240
	ds_write_b128 v206, v[28:31] offset:480
	;; [unrolled: 1-line block ×4, first 2 shown]
	s_waitcnt lgkmcnt(0)
	s_barrier
	ds_read_b128 v[40:43], v189
	ds_read_b128 v[116:119], v189 offset:6000
	ds_read_b128 v[112:115], v189 offset:12000
	;; [unrolled: 1-line block ×29, first 2 shown]
	global_load_dwordx4 v[132:135], v[120:121], off offset:1200
	global_load_dwordx4 v[128:131], v[120:121], off offset:1184
	;; [unrolled: 1-line block ×4, first 2 shown]
	s_movk_i32 s20, 0x90
	s_waitcnt vmcnt(3) lgkmcnt(14)
	v_mul_f64 v[146:147], v[104:105], v[134:135]
	v_accvgpr_write_b32 a112, v132
	s_waitcnt vmcnt(1)
	v_mul_f64 v[144:145], v[112:113], v[138:139]
	s_waitcnt vmcnt(0)
	v_mul_f64 v[122:123], v[118:119], v[142:143]
	v_fma_f64 v[124:125], v[116:117], v[140:141], -v[122:123]
	v_mul_f64 v[126:127], v[116:117], v[142:143]
	v_mul_f64 v[116:117], v[114:115], v[138:139]
	v_fma_f64 v[148:149], v[112:113], v[136:137], -v[116:117]
	v_fmac_f64_e32 v[144:145], v[114:115], v[136:137]
	v_pk_mov_b32 v[114:115], v[128:129], v[128:129] op_sel:[0,1]
	v_pk_mov_b32 v[116:117], v[130:131], v[130:131] op_sel:[0,1]
	v_mul_f64 v[112:113], v[110:111], v[116:117]
	v_accvgpr_write_b32 a120, v136
	v_fma_f64 v[130:131], v[108:109], v[114:115], -v[112:113]
	v_mul_f64 v[128:129], v[108:109], v[116:117]
	v_accvgpr_write_b32 a119, v117
	v_mul_f64 v[108:109], v[106:107], v[134:135]
	v_accvgpr_write_b32 a121, v137
	v_accvgpr_write_b32 a122, v138
	;; [unrolled: 1-line block ×3, first 2 shown]
	v_fmac_f64_e32 v[128:129], v[110:111], v[114:115]
	v_accvgpr_write_b32 a118, v116
	v_accvgpr_write_b32 a117, v115
	;; [unrolled: 1-line block ×3, first 2 shown]
	v_fma_f64 v[150:151], v[104:105], v[132:133], -v[108:109]
	v_fmac_f64_e32 v[146:147], v[106:107], v[132:133]
	v_accvgpr_write_b32 a113, v133
	v_accvgpr_write_b32 a114, v134
	;; [unrolled: 1-line block ×3, first 2 shown]
	global_load_dwordx4 v[106:109], v[120:121], off offset:1264
	global_load_dwordx4 v[110:113], v[120:121], off offset:1248
	;; [unrolled: 1-line block ×4, first 2 shown]
	v_accvgpr_write_b32 a124, v140
	v_fmac_f64_e32 v[126:127], v[118:119], v[140:141]
	v_accvgpr_write_b32 a125, v141
	v_accvgpr_write_b32 a126, v142
	;; [unrolled: 1-line block ×3, first 2 shown]
	s_waitcnt vmcnt(3)
	v_mul_f64 v[154:155], v[88:89], v[108:109]
	v_fmac_f64_e32 v[154:155], v[90:91], v[106:107]
	s_waitcnt vmcnt(1)
	v_mul_f64 v[152:153], v[96:97], v[116:117]
	s_waitcnt vmcnt(0)
	v_mul_f64 v[104:105], v[102:103], v[136:137]
	v_fma_f64 v[138:139], v[100:101], v[134:135], -v[104:105]
	v_mul_f64 v[132:133], v[100:101], v[136:137]
	v_mul_f64 v[100:101], v[98:99], v[116:117]
	v_accvgpr_write_b32 a84, v134
	v_fma_f64 v[156:157], v[96:97], v[114:115], -v[100:101]
	v_mul_f64 v[96:97], v[94:95], v[112:113]
	v_fmac_f64_e32 v[132:133], v[102:103], v[134:135]
	v_accvgpr_write_b32 a85, v135
	v_accvgpr_write_b32 a86, v136
	;; [unrolled: 1-line block ×3, first 2 shown]
	v_fma_f64 v[140:141], v[92:93], v[110:111], -v[96:97]
	v_mul_f64 v[134:135], v[92:93], v[112:113]
	v_mul_f64 v[92:93], v[90:91], v[108:109]
	v_fma_f64 v[158:159], v[88:89], v[106:107], -v[92:93]
	global_load_dwordx4 v[90:93], v[120:121], off offset:1280
	v_fmac_f64_e32 v[152:153], v[98:99], v[114:115]
	v_fmac_f64_e32 v[134:135], v[94:95], v[110:111]
	v_accvgpr_write_b32 a36, v106
	v_accvgpr_write_b32 a37, v107
	v_accvgpr_write_b32 a38, v108
	v_accvgpr_write_b32 a39, v109
	v_accvgpr_write_b32 a48, v110
	v_accvgpr_write_b32 a49, v111
	v_accvgpr_write_b32 a50, v112
	v_accvgpr_write_b32 a51, v113
	v_accvgpr_write_b32 a72, v114
	v_accvgpr_write_b32 a73, v115
	v_accvgpr_write_b32 a74, v116
	v_accvgpr_write_b32 a75, v117
	s_waitcnt vmcnt(0)
	v_mul_f64 v[88:89], v[86:87], v[92:93]
	v_fma_f64 v[142:143], v[84:85], v[90:91], -v[88:89]
	v_mul_f64 v[136:137], v[84:85], v[92:93]
	v_mul_lo_u16_sdwa v84, v190, s21 dst_sel:DWORD dst_unused:UNUSED_PAD src0_sel:BYTE_0 src1_sel:DWORD
	v_lshrrev_b16_e32 v161, 14, v84
	v_mul_lo_u16_e32 v84, 0x4b, v161
	v_sub_u16_e32 v84, v190, v84
	v_and_b32_e32 v162, 0xff, v84
	v_pk_mov_b32 v[84:85], s[10:11], s[10:11] op_sel:[0,1]
	v_accvgpr_write_b32 a56, v90
	v_mad_u64_u32 v[84:85], s[20:21], v162, s20, v[84:85]
	v_fmac_f64_e32 v[136:137], v[86:87], v[90:91]
	v_accvgpr_write_b32 a57, v91
	v_accvgpr_write_b32 a58, v92
	;; [unrolled: 1-line block ×3, first 2 shown]
	global_load_dwordx4 v[88:91], v[84:85], off offset:1200
	global_load_dwordx4 v[92:95], v[84:85], off offset:1184
	;; [unrolled: 1-line block ×4, first 2 shown]
	s_mov_b32 s11, 0xb4e9
	s_mov_b32 s21, 0xbfe9e377
	;; [unrolled: 1-line block ×3, first 2 shown]
	s_waitcnt vmcnt(3)
	v_accvgpr_write_b32 a52, v88
	s_waitcnt vmcnt(2)
	v_accvgpr_write_b32 a32, v92
	;; [unrolled: 2-line block ×3, first 2 shown]
	s_waitcnt vmcnt(0)
	v_mul_f64 v[86:87], v[82:83], v[102:103]
	v_fma_f64 v[120:121], v[80:81], v[100:101], -v[86:87]
	v_mul_f64 v[80:81], v[80:81], v[102:103]
	v_fmac_f64_e32 v[80:81], v[82:83], v[100:101]
	v_mul_f64 v[82:83], v[78:79], v[98:99]
	v_fma_f64 v[122:123], v[76:77], v[96:97], -v[82:83]
	v_mul_f64 v[82:83], v[76:77], v[98:99]
	v_mul_f64 v[76:77], v[74:75], v[94:95]
	v_fma_f64 v[76:77], v[72:73], v[92:93], -v[76:77]
	v_mul_f64 v[72:73], v[72:73], v[94:95]
	v_fmac_f64_e32 v[72:73], v[74:75], v[92:93]
	v_mul_f64 v[74:75], v[70:71], v[90:91]
	v_accvgpr_write_b32 a16, v100
	v_fmac_f64_e32 v[82:83], v[78:79], v[96:97]
	v_fma_f64 v[78:79], v[68:69], v[88:89], -v[74:75]
	v_mul_f64 v[74:75], v[68:69], v[90:91]
	v_accvgpr_write_b32 a17, v101
	v_accvgpr_write_b32 a18, v102
	;; [unrolled: 1-line block ×9, first 2 shown]
	v_fmac_f64_e32 v[74:75], v[70:71], v[88:89]
	v_accvgpr_write_b32 a53, v89
	v_accvgpr_write_b32 a54, v90
	;; [unrolled: 1-line block ×3, first 2 shown]
	global_load_dwordx4 v[86:89], v[84:85], off offset:1264
	global_load_dwordx4 v[90:93], v[84:85], off offset:1248
	;; [unrolled: 1-line block ×4, first 2 shown]
	s_waitcnt vmcnt(3)
	v_accvgpr_write_b32 a103, v89
	v_accvgpr_write_b32 a102, v88
	;; [unrolled: 1-line block ×3, first 2 shown]
	s_waitcnt vmcnt(0)
	v_mul_f64 v[68:69], v[66:67], v[100:101]
	v_fma_f64 v[68:69], v[64:65], v[98:99], -v[68:69]
	v_mul_f64 v[64:65], v[64:65], v[100:101]
	v_fmac_f64_e32 v[64:65], v[66:67], v[98:99]
	s_waitcnt lgkmcnt(13)
	v_mul_f64 v[66:67], v[62:63], v[96:97]
	v_fma_f64 v[70:71], v[60:61], v[94:95], -v[66:67]
	v_mul_f64 v[66:67], v[60:61], v[96:97]
	s_waitcnt lgkmcnt(12)
	v_mul_f64 v[60:61], v[58:59], v[92:93]
	v_fma_f64 v[60:61], v[56:57], v[90:91], -v[60:61]
	v_mul_f64 v[56:57], v[56:57], v[92:93]
	v_fmac_f64_e32 v[56:57], v[58:59], v[90:91]
	s_waitcnt lgkmcnt(11)
	v_mul_f64 v[58:59], v[54:55], v[88:89]
	v_fmac_f64_e32 v[66:67], v[62:63], v[94:95]
	v_fma_f64 v[62:63], v[52:53], v[86:87], -v[58:59]
	v_mul_f64 v[58:59], v[52:53], v[88:89]
	v_fmac_f64_e32 v[58:59], v[54:55], v[86:87]
	v_accvgpr_write_b32 a100, v86
	global_load_dwordx4 v[84:87], v[84:85], off offset:1280
	v_accvgpr_write_b32 a80, v94
	v_accvgpr_write_b32 a95, v93
	;; [unrolled: 1-line block ×12, first 2 shown]
	s_waitcnt vmcnt(0) lgkmcnt(10)
	v_mul_f64 v[52:53], v[50:51], v[86:87]
	v_fma_f64 v[52:53], v[48:49], v[84:85], -v[52:53]
	v_mul_f64 v[48:49], v[48:49], v[86:87]
	v_fmac_f64_e32 v[48:49], v[50:51], v[84:85]
	v_mul_u32_u24_sdwa v50, v191, s11 dst_sel:DWORD dst_unused:UNUSED_PAD src0_sel:WORD_0 src1_sel:DWORD
	v_sub_u16_sdwa v51, v191, v50 dst_sel:DWORD dst_unused:UNUSED_PAD src0_sel:DWORD src1_sel:WORD_1
	v_lshrrev_b16_e32 v51, 1, v51
	v_add_u16_sdwa v50, v51, v50 dst_sel:DWORD dst_unused:UNUSED_PAD src0_sel:DWORD src1_sel:WORD_1
	v_lshrrev_b16_e32 v163, 6, v50
	v_mul_lo_u16_e32 v50, 0x4b, v163
	v_sub_u16_e32 v164, v191, v50
	v_mul_lo_u16_e32 v50, 0x90, v164
	v_add_co_u32_e32 v50, vcc, s10, v50
	v_accvgpr_write_b32 a111, v87
	v_addc_co_u32_e32 v51, vcc, 0, v187, vcc
	v_accvgpr_write_b32 a110, v86
	v_accvgpr_write_b32 a109, v85
	;; [unrolled: 1-line block ×3, first 2 shown]
	global_load_dwordx4 v[86:89], v[50:51], off offset:1200
	global_load_dwordx4 v[90:93], v[50:51], off offset:1184
	;; [unrolled: 1-line block ×4, first 2 shown]
	s_movk_i32 s11, 0x4a
	v_cmp_lt_u16_e32 vcc, s11, v207
	s_movk_i32 s11, 0x2eb0
	s_waitcnt vmcnt(3)
	v_accvgpr_write_b32 a68, v86
	v_accvgpr_write_b32 a69, v87
	;; [unrolled: 1-line block ×3, first 2 shown]
	s_waitcnt vmcnt(0) lgkmcnt(8)
	v_mul_f64 v[54:55], v[46:47], v[106:107]
	v_fma_f64 v[98:99], v[44:45], v[104:105], -v[54:55]
	v_mul_f64 v[102:103], v[44:45], v[106:107]
	s_waitcnt lgkmcnt(7)
	v_mul_f64 v[44:45], v[38:39], v[96:97]
	v_fmac_f64_e32 v[102:103], v[46:47], v[104:105]
	v_fma_f64 v[112:113], v[36:37], v[94:95], -v[44:45]
	v_pk_mov_b32 v[44:45], v[90:91], v[90:91] op_sel:[0,1]
	v_accvgpr_write_b32 a28, v104
	v_pk_mov_b32 v[46:47], v[92:93], v[92:93] op_sel:[0,1]
	v_accvgpr_write_b32 a29, v105
	v_accvgpr_write_b32 a30, v106
	;; [unrolled: 1-line block ×3, first 2 shown]
	v_mul_f64 v[104:105], v[36:37], v[96:97]
	s_waitcnt lgkmcnt(6)
	v_mul_f64 v[36:37], v[34:35], v[46:47]
	v_fma_f64 v[92:93], v[32:33], v[44:45], -v[36:37]
	v_mul_f64 v[84:85], v[32:33], v[46:47]
	v_accvgpr_write_b32 a67, v47
	s_waitcnt lgkmcnt(5)
	v_mul_f64 v[32:33], v[30:31], v[88:89]
	v_mul_f64 v[106:107], v[28:29], v[88:89]
	v_fmac_f64_e32 v[84:85], v[34:35], v[44:45]
	v_accvgpr_write_b32 a66, v46
	v_accvgpr_write_b32 a65, v45
	;; [unrolled: 1-line block ×3, first 2 shown]
	v_fma_f64 v[114:115], v[28:29], v[86:87], -v[32:33]
	v_fmac_f64_e32 v[106:107], v[30:31], v[86:87]
	v_accvgpr_write_b32 a71, v89
	global_load_dwordx4 v[30:33], v[50:51], off offset:1264
	global_load_dwordx4 v[34:37], v[50:51], off offset:1248
	;; [unrolled: 1-line block ×4, first 2 shown]
	v_accvgpr_write_b32 a40, v94
	v_fmac_f64_e32 v[104:105], v[38:39], v[94:95]
	v_accvgpr_write_b32 a41, v95
	v_accvgpr_write_b32 a42, v96
	;; [unrolled: 1-line block ×3, first 2 shown]
	s_waitcnt vmcnt(3) lgkmcnt(1)
	v_mul_f64 v[110:111], v[12:13], v[32:33]
	v_fmac_f64_e32 v[110:111], v[14:15], v[30:31]
	s_waitcnt vmcnt(1)
	v_mul_f64 v[108:109], v[20:21], v[46:47]
	s_waitcnt vmcnt(0)
	v_mul_f64 v[28:29], v[26:27], v[90:91]
	v_fma_f64 v[94:95], v[24:25], v[88:89], -v[28:29]
	v_mul_f64 v[86:87], v[24:25], v[90:91]
	v_mul_f64 v[24:25], v[22:23], v[46:47]
	v_accvgpr_write_b32 a60, v88
	v_fma_f64 v[116:117], v[20:21], v[44:45], -v[24:25]
	v_mul_f64 v[20:21], v[18:19], v[36:37]
	v_fmac_f64_e32 v[86:87], v[26:27], v[88:89]
	v_accvgpr_write_b32 a61, v89
	v_accvgpr_write_b32 a62, v90
	;; [unrolled: 1-line block ×3, first 2 shown]
	v_fma_f64 v[96:97], v[16:17], v[34:35], -v[20:21]
	v_mul_f64 v[88:89], v[16:17], v[36:37]
	v_mul_f64 v[16:17], v[14:15], v[32:33]
	v_fma_f64 v[118:119], v[12:13], v[30:31], -v[16:17]
	global_load_dwordx4 v[14:17], v[50:51], off offset:1280
	v_accvgpr_write_b32 a99, v33
	v_accvgpr_write_b32 a98, v32
	;; [unrolled: 1-line block ×5, first 2 shown]
	v_fmac_f64_e32 v[88:89], v[18:19], v[34:35]
	v_accvgpr_write_b32 a90, v36
	v_accvgpr_write_b32 a89, v35
	;; [unrolled: 1-line block ×7, first 2 shown]
	v_fmac_f64_e32 v[108:109], v[22:23], v[44:45]
	v_add_f64 v[18:19], v[136:137], -v[134:135]
	s_waitcnt lgkmcnt(0)
	s_barrier
	s_waitcnt vmcnt(0)
	v_mul_f64 v[12:13], v[10:11], v[16:17]
	v_fma_f64 v[100:101], v[8:9], v[14:15], -v[12:13]
	v_mul_f64 v[90:91], v[8:9], v[16:17]
	v_add_f64 v[8:9], v[40:41], v[148:149]
	v_add_f64 v[8:9], v[8:9], v[150:151]
	;; [unrolled: 1-line block ×5, first 2 shown]
	v_accvgpr_write_b32 a107, v17
	v_fma_f64 v[30:31], -0.5, v[8:9], v[40:41]
	v_add_f64 v[8:9], v[144:145], -v[154:155]
	v_fmac_f64_e32 v[90:91], v[10:11], v[14:15]
	v_accvgpr_write_b32 a106, v16
	v_accvgpr_write_b32 a105, v15
	;; [unrolled: 1-line block ×3, first 2 shown]
	v_fma_f64 v[32:33], s[2:3], v[8:9], v[30:31]
	v_add_f64 v[10:11], v[146:147], -v[152:153]
	v_add_f64 v[12:13], v[148:149], -v[150:151]
	v_add_f64 v[14:15], v[158:159], -v[156:157]
	v_fmac_f64_e32 v[30:31], s[14:15], v[8:9]
	v_fmac_f64_e32 v[32:33], s[6:7], v[10:11]
	v_add_f64 v[12:13], v[12:13], v[14:15]
	v_fmac_f64_e32 v[30:31], s[8:9], v[10:11]
	v_fmac_f64_e32 v[32:33], s[4:5], v[12:13]
	v_fmac_f64_e32 v[30:31], s[4:5], v[12:13]
	v_add_f64 v[12:13], v[148:149], v[158:159]
	v_fmac_f64_e32 v[40:41], -0.5, v[12:13]
	v_fma_f64 v[38:39], s[14:15], v[10:11], v[40:41]
	v_fmac_f64_e32 v[40:41], s[2:3], v[10:11]
	v_fmac_f64_e32 v[38:39], s[6:7], v[8:9]
	v_fmac_f64_e32 v[40:41], s[8:9], v[8:9]
	v_add_f64 v[8:9], v[42:43], v[144:145]
	v_add_f64 v[8:9], v[8:9], v[146:147]
	v_add_f64 v[8:9], v[8:9], v[152:153]
	v_add_f64 v[12:13], v[150:151], -v[148:149]
	v_add_f64 v[14:15], v[156:157], -v[158:159]
	v_add_f64 v[34:35], v[8:9], v[154:155]
	v_add_f64 v[8:9], v[146:147], v[152:153]
	v_add_f64 v[12:13], v[12:13], v[14:15]
	v_fma_f64 v[50:51], -0.5, v[8:9], v[42:43]
	v_add_f64 v[8:9], v[148:149], -v[158:159]
	v_fmac_f64_e32 v[38:39], s[4:5], v[12:13]
	v_fmac_f64_e32 v[40:41], s[4:5], v[12:13]
	v_fma_f64 v[46:47], s[14:15], v[8:9], v[50:51]
	v_add_f64 v[10:11], v[150:151], -v[156:157]
	v_add_f64 v[12:13], v[144:145], -v[146:147]
	v_add_f64 v[14:15], v[154:155], -v[152:153]
	v_fmac_f64_e32 v[50:51], s[2:3], v[8:9]
	v_fmac_f64_e32 v[46:47], s[8:9], v[10:11]
	v_add_f64 v[12:13], v[12:13], v[14:15]
	v_fmac_f64_e32 v[50:51], s[6:7], v[10:11]
	v_fmac_f64_e32 v[46:47], s[4:5], v[12:13]
	v_fmac_f64_e32 v[50:51], s[4:5], v[12:13]
	v_add_f64 v[12:13], v[144:145], v[154:155]
	v_fmac_f64_e32 v[42:43], -0.5, v[12:13]
	v_fma_f64 v[54:55], s[2:3], v[10:11], v[42:43]
	v_fmac_f64_e32 v[42:43], s[14:15], v[10:11]
	v_fmac_f64_e32 v[54:55], s[8:9], v[8:9]
	v_fmac_f64_e32 v[42:43], s[6:7], v[8:9]
	v_add_f64 v[8:9], v[124:125], v[130:131]
	v_add_f64 v[8:9], v[8:9], v[138:139]
	v_add_f64 v[8:9], v[8:9], v[140:141]
	v_add_f64 v[12:13], v[146:147], -v[144:145]
	v_add_f64 v[14:15], v[152:153], -v[154:155]
	v_add_f64 v[36:37], v[8:9], v[142:143]
	v_add_f64 v[8:9], v[138:139], v[140:141]
	v_add_f64 v[12:13], v[12:13], v[14:15]
	v_fma_f64 v[22:23], -0.5, v[8:9], v[124:125]
	v_add_f64 v[8:9], v[128:129], -v[136:137]
	v_fmac_f64_e32 v[54:55], s[4:5], v[12:13]
	v_fmac_f64_e32 v[42:43], s[4:5], v[12:13]
	;; [unrolled: 28-line block ×3, first 2 shown]
	v_fma_f64 v[14:15], s[14:15], v[8:9], v[44:45]
	v_add_f64 v[12:13], v[138:139], -v[140:141]
	v_add_f64 v[16:17], v[128:129], -v[132:133]
	v_fmac_f64_e32 v[44:45], s[2:3], v[8:9]
	v_fmac_f64_e32 v[14:15], s[8:9], v[12:13]
	v_add_f64 v[16:17], v[16:17], v[18:19]
	v_fmac_f64_e32 v[44:45], s[6:7], v[12:13]
	v_fmac_f64_e32 v[14:15], s[4:5], v[16:17]
	;; [unrolled: 1-line block ×3, first 2 shown]
	v_add_f64 v[16:17], v[128:129], v[136:137]
	v_fmac_f64_e32 v[126:127], -0.5, v[16:17]
	v_fma_f64 v[130:131], s[2:3], v[12:13], v[126:127]
	v_add_f64 v[16:17], v[132:133], -v[128:129]
	v_add_f64 v[18:19], v[134:135], -v[136:137]
	v_fmac_f64_e32 v[126:127], s[14:15], v[12:13]
	v_add_f64 v[16:17], v[16:17], v[18:19]
	v_fmac_f64_e32 v[126:127], s[6:7], v[8:9]
	v_fmac_f64_e32 v[130:131], s[8:9], v[8:9]
	;; [unrolled: 1-line block ×3, first 2 shown]
	v_mul_f64 v[134:135], v[124:125], s[22:23]
	v_fmac_f64_e32 v[130:131], s[4:5], v[16:17]
	v_fmac_f64_e32 v[134:135], s[2:3], v[126:127]
	v_mul_f64 v[126:127], v[126:127], s[22:23]
	v_mul_f64 v[132:133], v[130:131], s[2:3]
	;; [unrolled: 1-line block ×3, first 2 shown]
	v_fmac_f64_e32 v[126:127], s[14:15], v[124:125]
	v_mul_f64 v[124:125], v[44:45], s[20:21]
	v_fmac_f64_e32 v[132:133], s[4:5], v[26:27]
	v_fmac_f64_e32 v[138:139], s[24:25], v[14:15]
	;; [unrolled: 1-line block ×3, first 2 shown]
	v_add_f64 v[16:17], v[28:29], v[36:37]
	v_mul_f64 v[128:129], v[14:15], s[6:7]
	v_add_f64 v[8:9], v[38:39], v[132:133]
	v_mul_f64 v[136:137], v[22:23], s[20:21]
	v_add_f64 v[18:19], v[34:35], v[144:145]
	v_add_f64 v[14:15], v[46:47], v[138:139]
	v_mul_f64 v[140:141], v[26:27], s[14:15]
	v_add_f64 v[26:27], v[42:43], v[126:127]
	v_add_f64 v[22:23], v[50:51], v[124:125]
	v_add_f64 v[36:37], v[28:29], -v[36:37]
	v_add_f64 v[28:29], v[38:39], -v[132:133]
	;; [unrolled: 1-line block ×6, first 2 shown]
	v_add_f64 v[50:51], v[4:5], v[122:123]
	v_add_f64 v[50:51], v[50:51], v[78:79]
	;; [unrolled: 1-line block ×5, first 2 shown]
	v_fmac_f64_e32 v[128:129], s[24:25], v[10:11]
	v_fmac_f64_e32 v[136:137], s[6:7], v[44:45]
	;; [unrolled: 1-line block ×3, first 2 shown]
	v_fma_f64 v[126:127], -0.5, v[50:51], v[4:5]
	v_add_f64 v[50:51], v[82:83], -v[58:59]
	v_add_f64 v[12:13], v[32:33], v[128:129]
	v_add_f64 v[24:25], v[40:41], v[134:135]
	;; [unrolled: 1-line block ×4, first 2 shown]
	v_add_f64 v[32:33], v[32:33], -v[128:129]
	v_add_f64 v[44:45], v[40:41], -v[134:135]
	;; [unrolled: 1-line block ×4, first 2 shown]
	v_fma_f64 v[128:129], s[2:3], v[50:51], v[126:127]
	v_add_f64 v[54:55], v[74:75], -v[66:67]
	v_add_f64 v[130:131], v[122:123], -v[78:79]
	;; [unrolled: 1-line block ×3, first 2 shown]
	v_fmac_f64_e32 v[126:127], s[14:15], v[50:51]
	v_fmac_f64_e32 v[128:129], s[6:7], v[54:55]
	v_add_f64 v[130:131], v[130:131], v[132:133]
	v_fmac_f64_e32 v[126:127], s[8:9], v[54:55]
	v_fmac_f64_e32 v[128:129], s[4:5], v[130:131]
	v_fmac_f64_e32 v[126:127], s[4:5], v[130:131]
	v_add_f64 v[130:131], v[122:123], v[62:63]
	v_fmac_f64_e32 v[4:5], -0.5, v[130:131]
	v_fma_f64 v[134:135], s[14:15], v[54:55], v[4:5]
	v_fmac_f64_e32 v[4:5], s[2:3], v[54:55]
	v_fmac_f64_e32 v[134:135], s[6:7], v[50:51]
	;; [unrolled: 1-line block ×3, first 2 shown]
	v_add_f64 v[50:51], v[6:7], v[82:83]
	v_add_f64 v[130:131], v[78:79], -v[122:123]
	v_add_f64 v[132:133], v[70:71], -v[62:63]
	v_add_f64 v[50:51], v[50:51], v[74:75]
	v_add_f64 v[130:131], v[130:131], v[132:133]
	;; [unrolled: 1-line block ×3, first 2 shown]
	v_fmac_f64_e32 v[134:135], s[4:5], v[130:131]
	v_fmac_f64_e32 v[4:5], s[4:5], v[130:131]
	v_add_f64 v[130:131], v[50:51], v[58:59]
	v_add_f64 v[50:51], v[74:75], v[66:67]
	v_fma_f64 v[132:133], -0.5, v[50:51], v[6:7]
	v_add_f64 v[50:51], v[122:123], -v[62:63]
	v_fma_f64 v[122:123], s[14:15], v[50:51], v[132:133]
	v_add_f64 v[54:55], v[78:79], -v[70:71]
	v_add_f64 v[62:63], v[82:83], -v[74:75]
	;; [unrolled: 1-line block ×3, first 2 shown]
	v_fmac_f64_e32 v[132:133], s[2:3], v[50:51]
	v_fmac_f64_e32 v[122:123], s[8:9], v[54:55]
	v_add_f64 v[62:63], v[62:63], v[70:71]
	v_fmac_f64_e32 v[132:133], s[6:7], v[54:55]
	v_fmac_f64_e32 v[122:123], s[4:5], v[62:63]
	;; [unrolled: 1-line block ×3, first 2 shown]
	v_add_f64 v[62:63], v[82:83], v[58:59]
	v_fmac_f64_e32 v[6:7], -0.5, v[62:63]
	v_fma_f64 v[70:71], s[2:3], v[54:55], v[6:7]
	v_fmac_f64_e32 v[6:7], s[14:15], v[54:55]
	v_fmac_f64_e32 v[70:71], s[8:9], v[50:51]
	v_fmac_f64_e32 v[6:7], s[6:7], v[50:51]
	v_add_f64 v[50:51], v[120:121], v[76:77]
	v_add_f64 v[50:51], v[50:51], v[68:69]
	;; [unrolled: 1-line block ×3, first 2 shown]
	v_add_f64 v[62:63], v[74:75], -v[82:83]
	v_add_f64 v[58:59], v[66:67], -v[58:59]
	v_add_f64 v[74:75], v[50:51], v[52:53]
	v_add_f64 v[50:51], v[68:69], v[60:61]
	;; [unrolled: 1-line block ×3, first 2 shown]
	v_fma_f64 v[62:63], -0.5, v[50:51], v[120:121]
	v_add_f64 v[50:51], v[72:73], -v[48:49]
	v_fmac_f64_e32 v[70:71], s[4:5], v[58:59]
	v_fmac_f64_e32 v[6:7], s[4:5], v[58:59]
	v_fma_f64 v[54:55], s[2:3], v[50:51], v[62:63]
	v_add_f64 v[58:59], v[64:65], -v[56:57]
	v_add_f64 v[66:67], v[76:77], -v[68:69]
	;; [unrolled: 1-line block ×3, first 2 shown]
	v_fmac_f64_e32 v[62:63], s[14:15], v[50:51]
	v_fmac_f64_e32 v[54:55], s[6:7], v[58:59]
	v_add_f64 v[66:67], v[66:67], v[78:79]
	v_fmac_f64_e32 v[62:63], s[8:9], v[58:59]
	v_fmac_f64_e32 v[54:55], s[4:5], v[66:67]
	;; [unrolled: 1-line block ×3, first 2 shown]
	v_add_f64 v[66:67], v[76:77], v[52:53]
	v_fmac_f64_e32 v[120:121], -0.5, v[66:67]
	v_fma_f64 v[66:67], s[14:15], v[58:59], v[120:121]
	v_fmac_f64_e32 v[120:121], s[2:3], v[58:59]
	v_fmac_f64_e32 v[66:67], s[6:7], v[50:51]
	;; [unrolled: 1-line block ×3, first 2 shown]
	v_add_f64 v[50:51], v[80:81], v[72:73]
	v_add_f64 v[78:79], v[68:69], -v[76:77]
	v_add_f64 v[82:83], v[60:61], -v[52:53]
	v_add_f64 v[50:51], v[50:51], v[64:65]
	v_add_f64 v[78:79], v[78:79], v[82:83]
	v_add_f64 v[50:51], v[50:51], v[56:57]
	v_fmac_f64_e32 v[66:67], s[4:5], v[78:79]
	v_fmac_f64_e32 v[120:121], s[4:5], v[78:79]
	v_add_f64 v[78:79], v[50:51], v[48:49]
	v_add_f64 v[50:51], v[64:65], v[56:57]
	v_fma_f64 v[82:83], -0.5, v[50:51], v[80:81]
	v_add_f64 v[50:51], v[76:77], -v[52:53]
	v_fma_f64 v[76:77], s[14:15], v[50:51], v[82:83]
	v_add_f64 v[52:53], v[68:69], -v[60:61]
	v_add_f64 v[58:59], v[72:73], -v[64:65]
	;; [unrolled: 1-line block ×3, first 2 shown]
	v_fmac_f64_e32 v[82:83], s[2:3], v[50:51]
	v_fmac_f64_e32 v[76:77], s[8:9], v[52:53]
	v_add_f64 v[58:59], v[58:59], v[60:61]
	v_fmac_f64_e32 v[82:83], s[6:7], v[52:53]
	v_fmac_f64_e32 v[76:77], s[4:5], v[58:59]
	;; [unrolled: 1-line block ×3, first 2 shown]
	v_add_f64 v[58:59], v[72:73], v[48:49]
	v_fmac_f64_e32 v[80:81], -0.5, v[58:59]
	v_fma_f64 v[68:69], s[2:3], v[52:53], v[80:81]
	v_add_f64 v[58:59], v[64:65], -v[72:73]
	v_add_f64 v[48:49], v[56:57], -v[48:49]
	v_fmac_f64_e32 v[80:81], s[14:15], v[52:53]
	v_add_f64 v[48:49], v[58:59], v[48:49]
	v_fmac_f64_e32 v[80:81], s[6:7], v[50:51]
	v_fmac_f64_e32 v[80:81], s[4:5], v[48:49]
	;; [unrolled: 1-line block ×3, first 2 shown]
	v_mul_f64 v[146:147], v[80:81], s[22:23]
	v_fmac_f64_e32 v[68:69], s[4:5], v[48:49]
	v_mul_f64 v[138:139], v[120:121], s[22:23]
	v_fmac_f64_e32 v[146:147], s[14:15], v[120:121]
	v_mul_f64 v[120:121], v[82:83], s[20:21]
	v_mul_f64 v[136:137], v[68:69], s[2:3]
	;; [unrolled: 1-line block ×3, first 2 shown]
	v_fmac_f64_e32 v[120:121], s[8:9], v[62:63]
	v_fmac_f64_e32 v[136:137], s[4:5], v[66:67]
	;; [unrolled: 1-line block ×3, first 2 shown]
	v_mul_f64 v[144:145], v[66:67], s[14:15]
	v_add_f64 v[66:67], v[6:7], v[146:147]
	v_add_f64 v[62:63], v[132:133], v[120:121]
	v_add_f64 v[82:83], v[6:7], -v[146:147]
	v_add_f64 v[6:7], v[132:133], -v[120:121]
	v_add_f64 v[120:121], v[0:1], v[112:113]
	v_mul_f64 v[142:143], v[54:55], s[8:9]
	v_add_f64 v[120:121], v[120:121], v[114:115]
	v_mul_f64 v[72:73], v[76:77], s[6:7]
	v_fmac_f64_e32 v[142:143], s[24:25], v[76:77]
	v_add_f64 v[120:121], v[120:121], v[116:117]
	v_add_f64 v[56:57], v[124:125], v[74:75]
	v_fmac_f64_e32 v[72:73], s[24:25], v[54:55]
	v_fmac_f64_e32 v[138:139], s[2:3], v[80:81]
	v_add_f64 v[54:55], v[122:123], v[142:143]
	v_add_f64 v[76:77], v[124:125], -v[74:75]
	v_add_f64 v[74:75], v[122:123], -v[142:143]
	v_add_f64 v[122:123], v[120:121], v[118:119]
	v_add_f64 v[120:121], v[114:115], v[116:117]
	;; [unrolled: 1-line block ×4, first 2 shown]
	v_add_f64 v[80:81], v[4:5], -v[138:139]
	v_add_f64 v[4:5], v[126:127], -v[140:141]
	v_fma_f64 v[126:127], -0.5, v[120:121], v[0:1]
	v_add_f64 v[120:121], v[104:105], -v[110:111]
	v_add_f64 v[52:53], v[128:129], v[72:73]
	v_add_f64 v[58:59], v[130:131], v[78:79]
	v_add_f64 v[72:73], v[128:129], -v[72:73]
	v_add_f64 v[78:79], v[130:131], -v[78:79]
	v_fma_f64 v[128:129], s[2:3], v[120:121], v[126:127]
	v_add_f64 v[124:125], v[106:107], -v[108:109]
	v_add_f64 v[130:131], v[112:113], -v[114:115]
	;; [unrolled: 1-line block ×3, first 2 shown]
	v_fmac_f64_e32 v[126:127], s[14:15], v[120:121]
	v_fmac_f64_e32 v[128:129], s[6:7], v[124:125]
	v_add_f64 v[130:131], v[130:131], v[132:133]
	v_fmac_f64_e32 v[126:127], s[8:9], v[124:125]
	v_fmac_f64_e32 v[128:129], s[4:5], v[130:131]
	;; [unrolled: 1-line block ×3, first 2 shown]
	v_add_f64 v[130:131], v[112:113], v[118:119]
	v_fmac_f64_e32 v[0:1], -0.5, v[130:131]
	v_fma_f64 v[132:133], s[14:15], v[124:125], v[0:1]
	v_fmac_f64_e32 v[0:1], s[2:3], v[124:125]
	v_fmac_f64_e32 v[132:133], s[6:7], v[120:121]
	;; [unrolled: 1-line block ×3, first 2 shown]
	v_add_f64 v[120:121], v[2:3], v[104:105]
	v_add_f64 v[48:49], v[134:135], v[136:137]
	v_fmac_f64_e32 v[144:145], s[4:5], v[68:69]
	v_add_f64 v[68:69], v[134:135], -v[136:137]
	v_add_f64 v[130:131], v[114:115], -v[112:113]
	v_add_f64 v[134:135], v[116:117], -v[118:119]
	v_add_f64 v[120:121], v[120:121], v[106:107]
	v_add_f64 v[130:131], v[130:131], v[134:135]
	;; [unrolled: 1-line block ×3, first 2 shown]
	v_fmac_f64_e32 v[132:133], s[4:5], v[130:131]
	v_fmac_f64_e32 v[0:1], s[4:5], v[130:131]
	v_add_f64 v[130:131], v[120:121], v[110:111]
	v_add_f64 v[120:121], v[106:107], v[108:109]
	v_fma_f64 v[120:121], -0.5, v[120:121], v[2:3]
	v_add_f64 v[112:113], v[112:113], -v[118:119]
	v_fma_f64 v[118:119], s[14:15], v[112:113], v[120:121]
	v_add_f64 v[114:115], v[114:115], -v[116:117]
	v_add_f64 v[116:117], v[104:105], -v[106:107]
	;; [unrolled: 1-line block ×3, first 2 shown]
	v_fmac_f64_e32 v[120:121], s[2:3], v[112:113]
	v_fmac_f64_e32 v[118:119], s[8:9], v[114:115]
	v_add_f64 v[116:117], v[116:117], v[124:125]
	v_fmac_f64_e32 v[120:121], s[6:7], v[114:115]
	v_fmac_f64_e32 v[118:119], s[4:5], v[116:117]
	;; [unrolled: 1-line block ×3, first 2 shown]
	v_add_f64 v[116:117], v[104:105], v[110:111]
	v_add_f64 v[104:105], v[106:107], -v[104:105]
	v_add_f64 v[106:107], v[108:109], -v[110:111]
	v_fmac_f64_e32 v[2:3], -0.5, v[116:117]
	v_add_f64 v[104:105], v[104:105], v[106:107]
	v_add_f64 v[106:107], v[94:95], v[96:97]
	v_fma_f64 v[134:135], s[2:3], v[114:115], v[2:3]
	v_fmac_f64_e32 v[2:3], s[14:15], v[114:115]
	v_fma_f64 v[106:107], -0.5, v[106:107], v[98:99]
	v_add_f64 v[108:109], v[84:85], -v[90:91]
	v_fmac_f64_e32 v[134:135], s[8:9], v[112:113]
	v_fmac_f64_e32 v[2:3], s[6:7], v[112:113]
	v_fma_f64 v[110:111], s[2:3], v[108:109], v[106:107]
	v_add_f64 v[112:113], v[86:87], -v[88:89]
	v_add_f64 v[114:115], v[92:93], -v[94:95]
	;; [unrolled: 1-line block ×3, first 2 shown]
	v_fmac_f64_e32 v[106:107], s[14:15], v[108:109]
	v_fmac_f64_e32 v[110:111], s[6:7], v[112:113]
	v_add_f64 v[114:115], v[114:115], v[116:117]
	v_fmac_f64_e32 v[106:107], s[8:9], v[112:113]
	v_fmac_f64_e32 v[110:111], s[4:5], v[114:115]
	;; [unrolled: 1-line block ×3, first 2 shown]
	v_add_f64 v[114:115], v[92:93], v[100:101]
	v_fmac_f64_e32 v[134:135], s[4:5], v[104:105]
	v_fmac_f64_e32 v[2:3], s[4:5], v[104:105]
	v_add_f64 v[104:105], v[98:99], v[92:93]
	v_fmac_f64_e32 v[98:99], -0.5, v[114:115]
	v_fma_f64 v[114:115], s[14:15], v[112:113], v[98:99]
	v_fmac_f64_e32 v[98:99], s[2:3], v[112:113]
	v_fmac_f64_e32 v[114:115], s[6:7], v[108:109]
	;; [unrolled: 1-line block ×3, first 2 shown]
	v_add_f64 v[108:109], v[102:103], v[84:85]
	v_add_f64 v[108:109], v[108:109], v[86:87]
	;; [unrolled: 1-line block ×7, first 2 shown]
	v_add_f64 v[116:117], v[94:95], -v[92:93]
	v_fma_f64 v[108:109], -0.5, v[108:109], v[102:103]
	v_add_f64 v[92:93], v[92:93], -v[100:101]
	v_add_f64 v[104:105], v[104:105], v[100:101]
	v_add_f64 v[124:125], v[96:97], -v[100:101]
	v_fma_f64 v[112:113], s[14:15], v[92:93], v[108:109]
	v_add_f64 v[94:95], v[94:95], -v[96:97]
	v_add_f64 v[96:97], v[84:85], -v[86:87]
	;; [unrolled: 1-line block ×3, first 2 shown]
	v_fmac_f64_e32 v[108:109], s[2:3], v[92:93]
	v_fmac_f64_e32 v[112:113], s[8:9], v[94:95]
	v_add_f64 v[96:97], v[96:97], v[100:101]
	v_fmac_f64_e32 v[108:109], s[6:7], v[94:95]
	v_fmac_f64_e32 v[112:113], s[4:5], v[96:97]
	;; [unrolled: 1-line block ×3, first 2 shown]
	v_add_f64 v[96:97], v[84:85], v[90:91]
	v_add_f64 v[116:117], v[116:117], v[124:125]
	v_fmac_f64_e32 v[102:103], -0.5, v[96:97]
	v_fmac_f64_e32 v[114:115], s[4:5], v[116:117]
	v_fmac_f64_e32 v[98:99], s[4:5], v[116:117]
	v_fma_f64 v[116:117], s[2:3], v[94:95], v[102:103]
	v_add_f64 v[84:85], v[86:87], -v[84:85]
	v_add_f64 v[86:87], v[88:89], -v[90:91]
	v_fmac_f64_e32 v[102:103], s[14:15], v[94:95]
	v_add_f64 v[84:85], v[84:85], v[86:87]
	v_fmac_f64_e32 v[102:103], s[6:7], v[92:93]
	v_fmac_f64_e32 v[102:103], s[4:5], v[84:85]
	v_mul_f64 v[138:139], v[112:113], s[6:7]
	v_fmac_f64_e32 v[138:139], s[24:25], v[110:111]
	v_mul_f64 v[110:111], v[110:111], s[8:9]
	v_mul_f64 v[148:149], v[102:103], s[22:23]
	;; [unrolled: 1-line block ×4, first 2 shown]
	v_fmac_f64_e32 v[110:111], s[24:25], v[112:113]
	v_fmac_f64_e32 v[148:149], s[14:15], v[98:99]
	;; [unrolled: 1-line block ×4, first 2 shown]
	v_add_f64 v[90:91], v[118:119], v[110:111]
	v_add_f64 v[102:103], v[2:3], v[148:149]
	;; [unrolled: 1-line block ×3, first 2 shown]
	v_add_f64 v[110:111], v[118:119], -v[110:111]
	v_add_f64 v[118:119], v[2:3], -v[148:149]
	;; [unrolled: 1-line block ×3, first 2 shown]
	v_mov_b32_e32 v120, 0x2ee
	v_cndmask_b32_e32 v120, 0, v120, vcc
	v_add_lshl_u32 v186, v160, v120, 4
	ds_write_b128 v186, v[16:19]
	ds_write_b128 v186, v[12:15] offset:1200
	ds_write_b128 v186, v[8:11] offset:2400
	;; [unrolled: 1-line block ×9, first 2 shown]
	v_lshlrev_b32_e32 v24, 6, v207
	v_add_co_u32_e32 v26, vcc, s10, v24
	v_fmac_f64_e32 v[116:117], s[8:9], v[92:93]
	v_addc_co_u32_e32 v27, vcc, 0, v187, vcc
	v_fmac_f64_e32 v[116:117], s[4:5], v[84:85]
	v_mul_u32_u24_e32 v8, 0x2ee, v161
	v_add_co_u32_e32 v24, vcc, s11, v26
	v_add_f64 v[50:51], v[70:71], v[144:145]
	v_add_f64 v[70:71], v[70:71], -v[144:145]
	v_mul_f64 v[140:141], v[116:117], s[2:3]
	v_mul_f64 v[144:145], v[106:107], s[20:21]
	;; [unrolled: 1-line block ×3, first 2 shown]
	v_add_lshl_u32 v157, v8, v162, 4
	v_addc_co_u32_e32 v25, vcc, 0, v27, vcc
	v_fmac_f64_e32 v[140:141], s[4:5], v[114:115]
	v_fmac_f64_e32 v[144:145], s[6:7], v[108:109]
	;; [unrolled: 1-line block ×3, first 2 shown]
	ds_write_b128 v157, v[56:59]
	ds_write_b128 v157, v[52:55] offset:1200
	ds_write_b128 v157, v[48:51] offset:2400
	;; [unrolled: 1-line block ×9, first 2 shown]
	v_mad_legacy_u16 v4, v163, s27, v164
	v_add_co_u32_e32 v26, vcc, s26, v26
	v_add_f64 v[92:93], v[122:123], v[104:105]
	v_add_f64 v[88:89], v[128:129], v[138:139]
	;; [unrolled: 1-line block ×7, first 2 shown]
	v_add_f64 v[112:113], v[122:123], -v[104:105]
	v_add_f64 v[108:109], v[128:129], -v[138:139]
	;; [unrolled: 1-line block ×7, first 2 shown]
	v_lshlrev_b32_e32 v156, 4, v4
	v_addc_co_u32_e32 v27, vcc, 0, v27, vcc
	ds_write_b128 v156, v[92:95]
	ds_write_b128 v156, v[88:91] offset:1200
	ds_write_b128 v156, v[84:87] offset:2400
	ds_write_b128 v156, v[100:103] offset:3600
	ds_write_b128 v156, v[96:99] offset:4800
	ds_write_b128 v156, v[112:115] offset:6000
	ds_write_b128 v156, v[108:111] offset:7200
	ds_write_b128 v156, v[104:107] offset:8400
	ds_write_b128 v156, v[116:119] offset:9600
	ds_write_b128 v156, v[0:3] offset:10800
	s_waitcnt lgkmcnt(0)
	s_barrier
	ds_read_b128 v[0:3], v189
	ds_read_b128 v[116:119], v189 offset:12000
	ds_read_b128 v[112:115], v189 offset:24000
	ds_read_b128 v[108:111], v189 offset:36000
	ds_read_b128 v[104:107], v189 offset:48000
	ds_read_b128 v[4:7], v189 offset:2000
	ds_read_b128 v[100:103], v189 offset:14000
	ds_read_b128 v[96:99], v189 offset:26000
	ds_read_b128 v[92:95], v189 offset:38000
	ds_read_b128 v[88:91], v189 offset:50000
	ds_read_b128 v[8:11], v189 offset:4000
	ds_read_b128 v[84:87], v189 offset:16000
	ds_read_b128 v[80:83], v189 offset:28000
	ds_read_b128 v[76:79], v189 offset:40000
	ds_read_b128 v[72:75], v189 offset:52000
	ds_read_b128 v[12:15], v189 offset:6000
	ds_read_b128 v[68:71], v189 offset:18000
	ds_read_b128 v[64:67], v189 offset:30000
	ds_read_b128 v[60:63], v189 offset:42000
	ds_read_b128 v[56:59], v189 offset:54000
	ds_read_b128 v[16:19], v189 offset:8000
	ds_read_b128 v[52:55], v189 offset:20000
	ds_read_b128 v[142:145], v189 offset:32000
	ds_read_b128 v[138:141], v189 offset:44000
	ds_read_b128 v[128:131], v189 offset:56000
	ds_read_b128 v[20:23], v189 offset:10000
	ds_read_b128 v[150:153], v189 offset:22000
	ds_read_b128 v[32:35], v189 offset:34000
	ds_read_b128 v[146:149], v189 offset:46000
	ds_read_b128 v[134:137], v189 offset:58000
	global_load_dwordx4 v[48:51], v[26:27], off offset:3760
	s_nop 0
	global_load_dwordx4 v[26:29], v[24:25], off offset:48
	global_load_dwordx4 v[40:43], v[24:25], off offset:32
	;; [unrolled: 1-line block ×3, first 2 shown]
	s_waitcnt vmcnt(3) lgkmcnt(14)
	v_mul_f64 v[24:25], v[118:119], v[50:51]
	v_fma_f64 v[38:39], v[116:117], v[48:49], -v[24:25]
	s_waitcnt vmcnt(2)
	v_accvgpr_write_b32 a0, v26
	s_waitcnt vmcnt(0)
	v_mul_f64 v[24:25], v[114:115], v[46:47]
	v_fma_f64 v[154:155], v[112:113], v[44:45], -v[24:25]
	v_mul_f64 v[112:113], v[112:113], v[46:47]
	v_mul_f64 v[24:25], v[110:111], v[42:43]
	v_fmac_f64_e32 v[112:113], v[114:115], v[44:45]
	v_fma_f64 v[132:133], v[108:109], v[40:41], -v[24:25]
	v_mul_f64 v[114:115], v[108:109], v[42:43]
	v_mul_f64 v[24:25], v[106:107], v[28:29]
	v_fmac_f64_e32 v[114:115], v[110:111], v[40:41]
	v_fma_f64 v[110:111], v[104:105], v[26:27], -v[24:25]
	v_mul_f64 v[104:105], v[104:105], v[28:29]
	v_lshlrev_b32_e32 v24, 6, v190
	v_fmac_f64_e32 v[104:105], v[106:107], v[26:27]
	v_accvgpr_write_b32 a1, v27
	v_accvgpr_write_b32 a2, v28
	;; [unrolled: 1-line block ×3, first 2 shown]
	v_add_co_u32_e32 v26, vcc, s10, v24
	v_addc_co_u32_e32 v27, vcc, 0, v187, vcc
	v_add_co_u32_e32 v24, vcc, s11, v26
	v_addc_co_u32_e32 v25, vcc, 0, v27, vcc
	;; [unrolled: 2-line block ×3, first 2 shown]
	global_load_dwordx4 v[208:211], v[26:27], off offset:3760
	global_load_dwordx4 v[252:255], v[24:25], off offset:48
	;; [unrolled: 1-line block ×4, first 2 shown]
	v_accvgpr_write_b32 a4, v40
	v_accvgpr_write_b32 a5, v41
	;; [unrolled: 1-line block ×4, first 2 shown]
	v_mul_f64 v[120:121], v[116:117], v[50:51]
	v_accvgpr_write_b32 a8, v44
	v_accvgpr_write_b32 a12, v48
	;; [unrolled: 1-line block ×8, first 2 shown]
	v_fmac_f64_e32 v[120:121], v[118:119], v[48:49]
	s_waitcnt vmcnt(3)
	v_mul_f64 v[24:25], v[102:103], v[210:211]
	v_fma_f64 v[106:107], v[100:101], v[208:209], -v[24:25]
	v_mul_f64 v[40:41], v[100:101], v[210:211]
	s_waitcnt vmcnt(0)
	v_mul_f64 v[24:25], v[98:99], v[246:247]
	v_fma_f64 v[126:127], v[96:97], v[244:245], -v[24:25]
	v_mul_f64 v[24:25], v[94:95], v[250:251]
	v_mul_f64 v[42:43], v[96:97], v[246:247]
	v_fma_f64 v[124:125], v[92:93], v[248:249], -v[24:25]
	v_mul_f64 v[24:25], v[90:91], v[254:255]
	v_fmac_f64_e32 v[42:43], v[98:99], v[244:245]
	v_fma_f64 v[98:99], v[88:89], v[252:253], -v[24:25]
	v_lshlrev_b32_e32 v24, 6, v191
	v_add_co_u32_e32 v26, vcc, s10, v24
	v_addc_co_u32_e32 v27, vcc, 0, v187, vcc
	v_add_co_u32_e32 v24, vcc, s11, v26
	v_addc_co_u32_e32 v25, vcc, 0, v27, vcc
	;; [unrolled: 2-line block ×3, first 2 shown]
	global_load_dwordx4 v[202:205], v[26:27], off offset:3760
	global_load_dwordx4 v[240:243], v[24:25], off offset:48
	global_load_dwordx4 v[236:239], v[24:25], off offset:32
	global_load_dwordx4 v[232:235], v[24:25], off offset:16
	v_mul_f64 v[92:93], v[92:93], v[250:251]
	v_fmac_f64_e32 v[92:93], v[94:95], v[248:249]
	v_mul_f64 v[94:95], v[88:89], v[254:255]
	v_fmac_f64_e32 v[94:95], v[90:91], v[252:253]
	v_fmac_f64_e32 v[40:41], v[102:103], v[208:209]
	s_waitcnt vmcnt(3)
	v_mul_f64 v[24:25], v[86:87], v[204:205]
	v_fma_f64 v[122:123], v[84:85], v[202:203], -v[24:25]
	s_waitcnt vmcnt(1)
	v_mul_f64 v[224:225], v[76:77], v[238:239]
	s_waitcnt vmcnt(0)
	v_mul_f64 v[24:25], v[82:83], v[234:235]
	v_fma_f64 v[116:117], v[80:81], v[232:233], -v[24:25]
	v_mul_f64 v[24:25], v[78:79], v[238:239]
	v_fma_f64 v[222:223], v[76:77], v[236:237], -v[24:25]
	v_mul_f64 v[24:25], v[74:75], v[242:243]
	v_fmac_f64_e32 v[224:225], v[78:79], v[236:237]
	v_fma_f64 v[78:79], v[72:73], v[240:241], -v[24:25]
	v_lshlrev_b32_e32 v24, 6, v192
	v_add_co_u32_e32 v26, vcc, s10, v24
	v_addc_co_u32_e32 v27, vcc, 0, v187, vcc
	v_add_co_u32_e32 v24, vcc, s11, v26
	v_addc_co_u32_e32 v25, vcc, 0, v27, vcc
	;; [unrolled: 2-line block ×3, first 2 shown]
	global_load_dwordx4 v[182:185], v[26:27], off offset:3760
	global_load_dwordx4 v[198:201], v[24:25], off offset:48
	;; [unrolled: 1-line block ×4, first 2 shown]
	v_mul_f64 v[72:73], v[72:73], v[242:243]
	v_fmac_f64_e32 v[72:73], v[74:75], v[240:241]
	v_mul_f64 v[118:119], v[84:85], v[204:205]
	v_fmac_f64_e32 v[118:119], v[86:87], v[202:203]
	v_mul_f64 v[226:227], v[80:81], v[234:235]
	v_fmac_f64_e32 v[226:227], v[82:83], v[232:233]
	s_waitcnt vmcnt(3) lgkmcnt(13)
	v_mul_f64 v[24:25], v[70:71], v[184:185]
	v_fma_f64 v[46:47], v[68:69], v[182:183], -v[24:25]
	s_waitcnt vmcnt(1) lgkmcnt(11)
	v_mul_f64 v[48:49], v[60:61], v[196:197]
	s_waitcnt vmcnt(0)
	v_mul_f64 v[24:25], v[66:67], v[192:193]
	v_fma_f64 v[50:51], v[64:65], v[190:191], -v[24:25]
	v_mul_f64 v[24:25], v[62:63], v[196:197]
	v_fma_f64 v[36:37], v[60:61], v[194:195], -v[24:25]
	s_waitcnt lgkmcnt(10)
	v_mul_f64 v[24:25], v[58:59], v[200:201]
	v_fma_f64 v[28:29], v[56:57], v[198:199], -v[24:25]
	v_lshlrev_b32_e32 v24, 6, v214
	v_add_co_u32_e32 v26, vcc, s10, v24
	v_addc_co_u32_e32 v27, vcc, 0, v187, vcc
	v_add_co_u32_e32 v24, vcc, s11, v26
	v_addc_co_u32_e32 v25, vcc, 0, v27, vcc
	v_add_co_u32_e32 v26, vcc, s26, v26
	v_addc_co_u32_e32 v27, vcc, 0, v27, vcc
	global_load_dwordx4 v[166:169], v[26:27], off offset:3760
	global_load_dwordx4 v[178:181], v[24:25], off offset:48
	;; [unrolled: 1-line block ×4, first 2 shown]
	v_fmac_f64_e32 v[48:49], v[62:63], v[194:195]
	v_mul_f64 v[60:61], v[56:57], v[200:201]
	v_fmac_f64_e32 v[60:61], v[58:59], v[198:199]
	v_mul_f64 v[44:45], v[64:65], v[192:193]
	;; [unrolled: 2-line block ×3, first 2 shown]
	v_fmac_f64_e32 v[74:75], v[70:71], v[182:183]
	v_add_f64 v[68:69], v[38:39], -v[154:155]
	v_add_f64 v[70:71], v[110:111], -v[132:133]
	v_add_f64 v[68:69], v[68:69], v[70:71]
	v_add_f64 v[70:71], v[132:133], -v[110:111]
	s_waitcnt vmcnt(3) lgkmcnt(8)
	v_mul_f64 v[24:25], v[54:55], v[168:169]
	s_waitcnt vmcnt(2) lgkmcnt(5)
	v_mul_f64 v[30:31], v[130:131], v[180:181]
	v_fma_f64 v[216:217], v[128:129], v[178:179], -v[30:31]
	v_lshlrev_b32_e32 v30, 6, v215
	v_fma_f64 v[56:57], v[52:53], v[166:167], -v[24:25]
	v_mul_f64 v[62:63], v[52:53], v[168:169]
	v_add_co_u32_e32 v52, vcc, s10, v30
	v_addc_co_u32_e32 v53, vcc, 0, v187, vcc
	v_add_co_u32_e32 v30, vcc, s11, v52
	v_addc_co_u32_e32 v31, vcc, 0, v53, vcc
	s_waitcnt vmcnt(0)
	v_mul_f64 v[24:25], v[144:145], v[172:173]
	v_add_co_u32_e32 v52, vcc, s26, v52
	v_fma_f64 v[26:27], v[142:143], v[170:171], -v[24:25]
	v_mul_f64 v[220:221], v[142:143], v[172:173]
	v_mul_f64 v[24:25], v[140:141], v[176:177]
	v_mul_f64 v[58:59], v[138:139], v[176:177]
	v_addc_co_u32_e32 v53, vcc, 0, v53, vcc
	v_fmac_f64_e32 v[220:221], v[144:145], v[170:171]
	v_fma_f64 v[24:25], v[138:139], v[174:175], -v[24:25]
	v_fmac_f64_e32 v[58:59], v[140:141], v[174:175]
	global_load_dwordx4 v[138:141], v[52:53], off offset:3760
	global_load_dwordx4 v[162:165], v[30:31], off offset:48
	global_load_dwordx4 v[158:161], v[30:31], off offset:32
	global_load_dwordx4 v[142:145], v[30:31], off offset:16
	v_fmac_f64_e32 v[62:63], v[54:55], v[166:167]
	v_add_f64 v[54:55], v[112:113], -v[114:115]
	v_mul_f64 v[218:219], v[128:129], v[180:181]
	v_fmac_f64_e32 v[218:219], v[130:131], v[178:179]
	s_mov_b32 s10, 0xea60
	s_waitcnt vmcnt(3) lgkmcnt(3)
	v_mul_f64 v[64:65], v[150:151], v[140:141]
	s_waitcnt vmcnt(2) lgkmcnt(0)
	v_mul_f64 v[52:53], v[136:137], v[164:165]
	v_mul_f64 v[30:31], v[152:153], v[140:141]
	v_fmac_f64_e32 v[64:65], v[152:153], v[138:139]
	v_fma_f64 v[152:153], v[134:135], v[162:163], -v[52:53]
	v_add_f64 v[52:53], v[0:1], v[38:39]
	v_fma_f64 v[66:67], v[150:151], v[138:139], -v[30:31]
	s_waitcnt vmcnt(0)
	v_mul_f64 v[30:31], v[34:35], v[144:145]
	v_add_f64 v[52:53], v[52:53], v[154:155]
	v_fma_f64 v[214:215], v[32:33], v[142:143], -v[30:31]
	v_mul_f64 v[32:33], v[32:33], v[144:145]
	v_mul_f64 v[30:31], v[148:149], v[160:161]
	v_add_f64 v[52:53], v[52:53], v[132:133]
	v_fmac_f64_e32 v[32:33], v[34:35], v[142:143]
	v_fma_f64 v[30:31], v[146:147], v[158:159], -v[30:31]
	v_mul_f64 v[34:35], v[146:147], v[160:161]
	v_mul_f64 v[146:147], v[134:135], v[164:165]
	v_add_f64 v[134:135], v[52:53], v[110:111]
	v_add_f64 v[52:53], v[154:155], v[132:133]
	v_fma_f64 v[88:89], -0.5, v[52:53], v[0:1]
	v_add_f64 v[52:53], v[120:121], -v[104:105]
	v_fma_f64 v[108:109], s[2:3], v[52:53], v[88:89]
	v_fmac_f64_e32 v[88:89], s[14:15], v[52:53]
	v_fmac_f64_e32 v[108:109], s[6:7], v[54:55]
	;; [unrolled: 1-line block ×5, first 2 shown]
	v_add_f64 v[68:69], v[38:39], v[110:111]
	v_fmac_f64_e32 v[0:1], -0.5, v[68:69]
	v_fma_f64 v[100:101], s[14:15], v[54:55], v[0:1]
	v_fmac_f64_e32 v[0:1], s[2:3], v[54:55]
	v_fmac_f64_e32 v[100:101], s[6:7], v[52:53]
	;; [unrolled: 1-line block ×3, first 2 shown]
	v_add_f64 v[52:53], v[2:3], v[120:121]
	v_add_f64 v[52:53], v[52:53], v[112:113]
	;; [unrolled: 1-line block ×3, first 2 shown]
	v_fmac_f64_e32 v[146:147], v[136:137], v[162:163]
	v_add_f64 v[68:69], v[154:155], -v[38:39]
	v_add_f64 v[136:137], v[52:53], v[104:105]
	v_add_f64 v[52:53], v[112:113], v[114:115]
	v_add_f64 v[68:69], v[68:69], v[70:71]
	v_fma_f64 v[90:91], -0.5, v[52:53], v[2:3]
	v_add_f64 v[38:39], v[38:39], -v[110:111]
	v_fmac_f64_e32 v[100:101], s[4:5], v[68:69]
	v_fmac_f64_e32 v[0:1], s[4:5], v[68:69]
	v_fma_f64 v[110:111], s[14:15], v[38:39], v[90:91]
	v_add_f64 v[52:53], v[154:155], -v[132:133]
	v_add_f64 v[54:55], v[120:121], -v[112:113]
	v_add_f64 v[68:69], v[104:105], -v[114:115]
	v_fmac_f64_e32 v[90:91], s[2:3], v[38:39]
	v_fmac_f64_e32 v[110:111], s[8:9], v[52:53]
	v_add_f64 v[54:55], v[54:55], v[68:69]
	v_fmac_f64_e32 v[90:91], s[6:7], v[52:53]
	v_fmac_f64_e32 v[110:111], s[4:5], v[54:55]
	v_fmac_f64_e32 v[90:91], s[4:5], v[54:55]
	v_add_f64 v[54:55], v[120:121], v[104:105]
	v_fmac_f64_e32 v[2:3], -0.5, v[54:55]
	v_fma_f64 v[102:103], s[2:3], v[52:53], v[2:3]
	v_fmac_f64_e32 v[2:3], s[14:15], v[52:53]
	v_fmac_f64_e32 v[102:103], s[8:9], v[38:39]
	v_fmac_f64_e32 v[2:3], s[6:7], v[38:39]
	v_add_f64 v[38:39], v[4:5], v[106:107]
	v_add_f64 v[38:39], v[38:39], v[126:127]
	v_add_f64 v[38:39], v[38:39], v[124:125]
	v_add_f64 v[54:55], v[112:113], -v[120:121]
	v_add_f64 v[68:69], v[114:115], -v[104:105]
	v_add_f64 v[112:113], v[38:39], v[98:99]
	v_add_f64 v[38:39], v[126:127], v[124:125]
	v_add_f64 v[54:55], v[54:55], v[68:69]
	v_fma_f64 v[84:85], -0.5, v[38:39], v[4:5]
	v_add_f64 v[38:39], v[40:41], -v[94:95]
	v_fmac_f64_e32 v[102:103], s[4:5], v[54:55]
	v_fmac_f64_e32 v[2:3], s[4:5], v[54:55]
	v_fma_f64 v[104:105], s[2:3], v[38:39], v[84:85]
	v_add_f64 v[52:53], v[42:43], -v[92:93]
	v_add_f64 v[54:55], v[106:107], -v[126:127]
	v_add_f64 v[68:69], v[98:99], -v[124:125]
	v_fmac_f64_e32 v[84:85], s[14:15], v[38:39]
	v_fmac_f64_e32 v[104:105], s[6:7], v[52:53]
	v_add_f64 v[54:55], v[54:55], v[68:69]
	v_fmac_f64_e32 v[84:85], s[8:9], v[52:53]
	v_fmac_f64_e32 v[104:105], s[4:5], v[54:55]
	v_fmac_f64_e32 v[84:85], s[4:5], v[54:55]
	v_add_f64 v[54:55], v[106:107], v[98:99]
	v_fmac_f64_e32 v[4:5], -0.5, v[54:55]
	v_fma_f64 v[96:97], s[14:15], v[52:53], v[4:5]
	v_fmac_f64_e32 v[4:5], s[2:3], v[52:53]
	v_fmac_f64_e32 v[96:97], s[6:7], v[38:39]
	v_fmac_f64_e32 v[4:5], s[8:9], v[38:39]
	v_add_f64 v[38:39], v[6:7], v[40:41]
	v_add_f64 v[38:39], v[38:39], v[42:43]
	v_add_f64 v[38:39], v[38:39], v[92:93]
	v_add_f64 v[54:55], v[126:127], -v[106:107]
	;; [unrolled: 28-line block ×5, first 2 shown]
	v_add_f64 v[52:53], v[224:225], -v[72:73]
	v_add_f64 v[120:121], v[38:39], v[28:29]
	v_add_f64 v[38:39], v[50:51], v[36:37]
	;; [unrolled: 1-line block ×3, first 2 shown]
	v_fma_f64 v[52:53], -0.5, v[38:39], v[12:13]
	v_add_f64 v[38:39], v[74:75], -v[60:61]
	v_fmac_f64_e32 v[34:35], v[148:149], v[158:159]
	v_fmac_f64_e32 v[78:79], s[4:5], v[42:43]
	;; [unrolled: 1-line block ×3, first 2 shown]
	v_fma_f64 v[148:149], s[2:3], v[38:39], v[52:53]
	v_add_f64 v[40:41], v[44:45], -v[48:49]
	v_add_f64 v[42:43], v[46:47], -v[50:51]
	;; [unrolled: 1-line block ×3, first 2 shown]
	v_fmac_f64_e32 v[52:53], s[14:15], v[38:39]
	v_fmac_f64_e32 v[148:149], s[6:7], v[40:41]
	v_add_f64 v[42:43], v[42:43], v[54:55]
	v_fmac_f64_e32 v[52:53], s[8:9], v[40:41]
	v_fmac_f64_e32 v[148:149], s[4:5], v[42:43]
	v_fmac_f64_e32 v[52:53], s[4:5], v[42:43]
	v_add_f64 v[42:43], v[46:47], v[28:29]
	v_fmac_f64_e32 v[12:13], -0.5, v[42:43]
	v_fma_f64 v[124:125], s[14:15], v[40:41], v[12:13]
	v_fmac_f64_e32 v[12:13], s[2:3], v[40:41]
	v_fmac_f64_e32 v[124:125], s[6:7], v[38:39]
	;; [unrolled: 1-line block ×3, first 2 shown]
	v_add_f64 v[38:39], v[14:15], v[74:75]
	v_add_f64 v[38:39], v[38:39], v[44:45]
	;; [unrolled: 1-line block ×3, first 2 shown]
	v_add_f64 v[42:43], v[50:51], -v[46:47]
	v_add_f64 v[54:55], v[36:37], -v[28:29]
	v_add_f64 v[122:123], v[38:39], v[60:61]
	v_add_f64 v[38:39], v[44:45], v[48:49]
	;; [unrolled: 1-line block ×3, first 2 shown]
	v_fma_f64 v[54:55], -0.5, v[38:39], v[14:15]
	v_add_f64 v[28:29], v[46:47], -v[28:29]
	v_fma_f64 v[150:151], s[14:15], v[28:29], v[54:55]
	v_add_f64 v[36:37], v[50:51], -v[36:37]
	v_add_f64 v[38:39], v[74:75], -v[44:45]
	;; [unrolled: 1-line block ×3, first 2 shown]
	v_fmac_f64_e32 v[54:55], s[2:3], v[28:29]
	v_fmac_f64_e32 v[150:151], s[8:9], v[36:37]
	v_add_f64 v[38:39], v[38:39], v[40:41]
	v_fmac_f64_e32 v[54:55], s[6:7], v[36:37]
	v_fmac_f64_e32 v[150:151], s[4:5], v[38:39]
	;; [unrolled: 1-line block ×3, first 2 shown]
	v_add_f64 v[38:39], v[74:75], v[60:61]
	v_fmac_f64_e32 v[14:15], -0.5, v[38:39]
	v_fma_f64 v[126:127], s[2:3], v[36:37], v[14:15]
	v_fmac_f64_e32 v[14:15], s[14:15], v[36:37]
	v_fmac_f64_e32 v[126:127], s[8:9], v[28:29]
	;; [unrolled: 1-line block ×3, first 2 shown]
	v_add_f64 v[28:29], v[16:17], v[56:57]
	v_add_f64 v[28:29], v[28:29], v[26:27]
	v_add_f64 v[28:29], v[28:29], v[24:25]
	v_add_f64 v[38:39], v[44:45], -v[74:75]
	v_add_f64 v[40:41], v[48:49], -v[60:61]
	v_add_f64 v[116:117], v[28:29], v[216:217]
	v_add_f64 v[28:29], v[26:27], v[24:25]
	;; [unrolled: 1-line block ×3, first 2 shown]
	v_fma_f64 v[36:37], -0.5, v[28:29], v[16:17]
	v_add_f64 v[28:29], v[62:63], -v[218:219]
	v_fmac_f64_e32 v[124:125], s[4:5], v[42:43]
	v_fmac_f64_e32 v[12:13], s[4:5], v[42:43]
	;; [unrolled: 1-line block ×4, first 2 shown]
	v_fma_f64 v[48:49], s[2:3], v[28:29], v[36:37]
	v_add_f64 v[38:39], v[220:221], -v[58:59]
	v_add_f64 v[40:41], v[56:57], -v[26:27]
	;; [unrolled: 1-line block ×3, first 2 shown]
	v_fmac_f64_e32 v[36:37], s[14:15], v[28:29]
	v_fmac_f64_e32 v[48:49], s[6:7], v[38:39]
	v_add_f64 v[40:41], v[40:41], v[42:43]
	v_fmac_f64_e32 v[36:37], s[8:9], v[38:39]
	v_fmac_f64_e32 v[48:49], s[4:5], v[40:41]
	;; [unrolled: 1-line block ×3, first 2 shown]
	v_add_f64 v[40:41], v[56:57], v[216:217]
	v_fmac_f64_e32 v[16:17], -0.5, v[40:41]
	v_fma_f64 v[44:45], s[14:15], v[38:39], v[16:17]
	v_fmac_f64_e32 v[16:17], s[2:3], v[38:39]
	v_fmac_f64_e32 v[44:45], s[6:7], v[28:29]
	v_fmac_f64_e32 v[16:17], s[8:9], v[28:29]
	v_add_f64 v[28:29], v[18:19], v[62:63]
	v_add_f64 v[28:29], v[28:29], v[220:221]
	;; [unrolled: 1-line block ×3, first 2 shown]
	v_add_f64 v[40:41], v[26:27], -v[56:57]
	v_add_f64 v[42:43], v[24:25], -v[216:217]
	v_add_f64 v[118:119], v[28:29], v[218:219]
	v_add_f64 v[28:29], v[220:221], v[58:59]
	;; [unrolled: 1-line block ×3, first 2 shown]
	v_fma_f64 v[38:39], -0.5, v[28:29], v[18:19]
	v_add_f64 v[28:29], v[56:57], -v[216:217]
	v_fmac_f64_e32 v[44:45], s[4:5], v[40:41]
	v_fmac_f64_e32 v[16:17], s[4:5], v[40:41]
	v_fma_f64 v[50:51], s[14:15], v[28:29], v[38:39]
	v_add_f64 v[24:25], v[26:27], -v[24:25]
	v_add_f64 v[26:27], v[62:63], -v[220:221]
	;; [unrolled: 1-line block ×3, first 2 shown]
	v_fmac_f64_e32 v[38:39], s[2:3], v[28:29]
	v_fmac_f64_e32 v[50:51], s[8:9], v[24:25]
	v_add_f64 v[26:27], v[26:27], v[40:41]
	v_fmac_f64_e32 v[38:39], s[6:7], v[24:25]
	v_fmac_f64_e32 v[50:51], s[4:5], v[26:27]
	;; [unrolled: 1-line block ×3, first 2 shown]
	v_add_f64 v[26:27], v[62:63], v[218:219]
	v_fmac_f64_e32 v[18:19], -0.5, v[26:27]
	v_fma_f64 v[46:47], s[2:3], v[24:25], v[18:19]
	v_fmac_f64_e32 v[18:19], s[14:15], v[24:25]
	v_add_f64 v[24:25], v[20:21], v[66:67]
	v_add_f64 v[24:25], v[24:25], v[214:215]
	v_add_f64 v[26:27], v[220:221], -v[62:63]
	v_add_f64 v[40:41], v[58:59], -v[218:219]
	v_add_f64 v[24:25], v[24:25], v[30:31]
	v_fmac_f64_e32 v[46:47], s[8:9], v[28:29]
	v_add_f64 v[26:27], v[26:27], v[40:41]
	v_fmac_f64_e32 v[18:19], s[6:7], v[28:29]
	v_add_f64 v[40:41], v[24:25], v[152:153]
	v_add_f64 v[24:25], v[214:215], v[30:31]
	v_fmac_f64_e32 v[46:47], s[4:5], v[26:27]
	v_fmac_f64_e32 v[18:19], s[4:5], v[26:27]
	v_fma_f64 v[24:25], -0.5, v[24:25], v[20:21]
	v_add_f64 v[26:27], v[64:65], -v[146:147]
	v_fma_f64 v[56:57], s[2:3], v[26:27], v[24:25]
	v_add_f64 v[42:43], v[32:33], -v[34:35]
	v_add_f64 v[28:29], v[66:67], -v[214:215]
	;; [unrolled: 1-line block ×3, first 2 shown]
	v_fmac_f64_e32 v[24:25], s[14:15], v[26:27]
	v_fmac_f64_e32 v[56:57], s[6:7], v[42:43]
	v_add_f64 v[28:29], v[28:29], v[58:59]
	v_fmac_f64_e32 v[24:25], s[8:9], v[42:43]
	v_fmac_f64_e32 v[56:57], s[4:5], v[28:29]
	;; [unrolled: 1-line block ×3, first 2 shown]
	v_add_f64 v[28:29], v[66:67], v[152:153]
	v_fmac_f64_e32 v[20:21], -0.5, v[28:29]
	v_fma_f64 v[28:29], s[14:15], v[42:43], v[20:21]
	v_fmac_f64_e32 v[20:21], s[2:3], v[42:43]
	v_fmac_f64_e32 v[28:29], s[6:7], v[26:27]
	;; [unrolled: 1-line block ×3, first 2 shown]
	v_add_f64 v[26:27], v[22:23], v[64:65]
	v_add_f64 v[26:27], v[26:27], v[32:33]
	;; [unrolled: 1-line block ×3, first 2 shown]
	v_add_f64 v[58:59], v[214:215], -v[66:67]
	v_add_f64 v[60:61], v[30:31], -v[152:153]
	v_add_f64 v[42:43], v[26:27], v[146:147]
	v_add_f64 v[26:27], v[32:33], v[34:35]
	;; [unrolled: 1-line block ×3, first 2 shown]
	v_fma_f64 v[26:27], -0.5, v[26:27], v[22:23]
	v_add_f64 v[60:61], v[66:67], -v[152:153]
	v_fmac_f64_e32 v[28:29], s[4:5], v[58:59]
	v_fmac_f64_e32 v[20:21], s[4:5], v[58:59]
	v_fma_f64 v[58:59], s[14:15], v[60:61], v[26:27]
	v_add_f64 v[62:63], v[214:215], -v[30:31]
	v_add_f64 v[30:31], v[64:65], -v[32:33]
	v_add_f64 v[66:67], v[146:147], -v[34:35]
	v_fmac_f64_e32 v[26:27], s[2:3], v[60:61]
	v_fmac_f64_e32 v[58:59], s[8:9], v[62:63]
	v_add_f64 v[30:31], v[30:31], v[66:67]
	v_fmac_f64_e32 v[26:27], s[6:7], v[62:63]
	v_fmac_f64_e32 v[58:59], s[4:5], v[30:31]
	;; [unrolled: 1-line block ×3, first 2 shown]
	v_add_f64 v[30:31], v[64:65], v[146:147]
	v_fmac_f64_e32 v[22:23], -0.5, v[30:31]
	v_fma_f64 v[30:31], s[2:3], v[62:63], v[22:23]
	v_add_f64 v[32:33], v[32:33], -v[64:65]
	v_add_f64 v[34:35], v[34:35], -v[146:147]
	v_fmac_f64_e32 v[22:23], s[14:15], v[62:63]
	v_fmac_f64_e32 v[30:31], s[8:9], v[60:61]
	v_add_f64 v[32:33], v[32:33], v[34:35]
	v_fmac_f64_e32 v[22:23], s[6:7], v[60:61]
	v_fmac_f64_e32 v[30:31], s[4:5], v[32:33]
	;; [unrolled: 1-line block ×3, first 2 shown]
	ds_write_b128 v189, v[134:137]
	ds_write_b128 v189, v[108:111] offset:12000
	ds_write_b128 v189, v[100:103] offset:24000
	;; [unrolled: 1-line block ×29, first 2 shown]
	v_accvgpr_read_b32 v4, a24
	v_accvgpr_read_b32 v5, a25
	s_waitcnt lgkmcnt(0)
	s_barrier
	global_load_dwordx4 v[4:7], v[4:5], off offset:2656
	ds_read_b128 v[0:3], v189
	v_add_co_u32_e32 v14, vcc, s10, v212
	v_addc_co_u32_e32 v15, vcc, 0, v213, vcc
	s_mov_b32 s10, 0x13000
	s_waitcnt vmcnt(0) lgkmcnt(0)
	v_mul_f64 v[8:9], v[2:3], v[6:7]
	v_fma_f64 v[8:9], v[0:1], v[4:5], -v[8:9]
	v_mul_f64 v[10:11], v[0:1], v[6:7]
	v_add_co_u32_e32 v0, vcc, s10, v212
	v_fmac_f64_e32 v[10:11], v[2:3], v[4:5]
	v_addc_co_u32_e32 v1, vcc, 0, v213, vcc
	ds_write_b128 v189, v[8:11]
	global_load_dwordx4 v[6:9], v[0:1], off offset:2176
	ds_read_b128 v[2:5], v189 offset:20000
	s_mov_b32 s10, 0x18000
	v_add_co_u32_e32 v16, vcc, s10, v212
	v_addc_co_u32_e32 v17, vcc, 0, v213, vcc
	s_mov_b32 s10, 0x14000
	v_add_co_u32_e32 v18, vcc, s10, v212
	v_addc_co_u32_e32 v19, vcc, 0, v213, vcc
	s_mov_b32 s10, 0x19000
	s_waitcnt vmcnt(0) lgkmcnt(0)
	v_mul_f64 v[10:11], v[4:5], v[8:9]
	v_mul_f64 v[12:13], v[2:3], v[8:9]
	v_fma_f64 v[10:11], v[2:3], v[6:7], -v[10:11]
	v_fmac_f64_e32 v[12:13], v[4:5], v[6:7]
	global_load_dwordx4 v[6:9], v[16:17], off offset:1696
	ds_read_b128 v[2:5], v189 offset:40000
	ds_write_b128 v189, v[10:13] offset:20000
	s_waitcnt vmcnt(0) lgkmcnt(1)
	v_mul_f64 v[10:11], v[4:5], v[8:9]
	v_mul_f64 v[12:13], v[2:3], v[8:9]
	v_fma_f64 v[10:11], v[2:3], v[6:7], -v[10:11]
	v_fmac_f64_e32 v[12:13], v[4:5], v[6:7]
	global_load_dwordx4 v[6:9], v[14:15], off offset:2000
	ds_read_b128 v[2:5], v189 offset:2000
	ds_write_b128 v189, v[10:13] offset:40000
	;; [unrolled: 8-line block ×5, first 2 shown]
	v_add_co_u32_e32 v14, vcc, s10, v212
	v_addc_co_u32_e32 v15, vcc, 0, v213, vcc
	s_mov_b32 s10, 0x10000
	v_add_co_u32_e32 v16, vcc, s10, v212
	v_addc_co_u32_e32 v17, vcc, 0, v213, vcc
	s_mov_b32 s10, 0x15000
	s_waitcnt vmcnt(0) lgkmcnt(1)
	v_mul_f64 v[10:11], v[4:5], v[8:9]
	v_mul_f64 v[12:13], v[2:3], v[8:9]
	v_fma_f64 v[10:11], v[2:3], v[6:7], -v[10:11]
	v_fmac_f64_e32 v[12:13], v[4:5], v[6:7]
	global_load_dwordx4 v[6:9], v[18:19], off offset:2080
	ds_read_b128 v[2:5], v189 offset:24000
	ds_write_b128 v189, v[10:13] offset:4000
	s_waitcnt vmcnt(0) lgkmcnt(1)
	v_mul_f64 v[10:11], v[4:5], v[8:9]
	v_mul_f64 v[12:13], v[2:3], v[8:9]
	v_fma_f64 v[10:11], v[2:3], v[6:7], -v[10:11]
	v_fmac_f64_e32 v[12:13], v[4:5], v[6:7]
	global_load_dwordx4 v[6:9], v[14:15], off offset:1600
	ds_read_b128 v[2:5], v189 offset:44000
	ds_write_b128 v189, v[10:13] offset:24000
	;; [unrolled: 8-line block ×5, first 2 shown]
	v_add_co_u32_e32 v14, vcc, s10, v212
	v_addc_co_u32_e32 v15, vcc, 0, v213, vcc
	s_mov_b32 s10, 0x1a000
	s_waitcnt vmcnt(0) lgkmcnt(1)
	v_mul_f64 v[10:11], v[4:5], v[8:9]
	v_mul_f64 v[12:13], v[2:3], v[8:9]
	v_fma_f64 v[10:11], v[2:3], v[6:7], -v[10:11]
	v_fmac_f64_e32 v[12:13], v[4:5], v[6:7]
	global_load_dwordx4 v[6:9], v[16:17], off offset:2464
	ds_read_b128 v[2:5], v189 offset:8000
	ds_write_b128 v189, v[10:13] offset:46000
	v_add_co_u32_e32 v16, vcc, s10, v212
	v_addc_co_u32_e32 v17, vcc, 0, v213, vcc
	s_mov_b32 s10, 0x11000
	v_add_co_u32_e32 v18, vcc, s10, v212
	v_addc_co_u32_e32 v19, vcc, 0, v213, vcc
	s_mov_b32 s10, 0x16000
	s_waitcnt vmcnt(0) lgkmcnt(1)
	v_mul_f64 v[10:11], v[4:5], v[8:9]
	v_mul_f64 v[12:13], v[2:3], v[8:9]
	v_fma_f64 v[10:11], v[2:3], v[6:7], -v[10:11]
	v_fmac_f64_e32 v[12:13], v[4:5], v[6:7]
	global_load_dwordx4 v[6:9], v[14:15], off offset:1984
	ds_read_b128 v[2:5], v189 offset:28000
	ds_write_b128 v189, v[10:13] offset:8000
	s_waitcnt vmcnt(0) lgkmcnt(1)
	v_mul_f64 v[10:11], v[4:5], v[8:9]
	v_mul_f64 v[12:13], v[2:3], v[8:9]
	v_fma_f64 v[10:11], v[2:3], v[6:7], -v[10:11]
	v_fmac_f64_e32 v[12:13], v[4:5], v[6:7]
	global_load_dwordx4 v[6:9], v[16:17], off offset:1504
	ds_read_b128 v[2:5], v189 offset:48000
	ds_write_b128 v189, v[10:13] offset:28000
	;; [unrolled: 8-line block ×4, first 2 shown]
	v_add_co_u32_e32 v14, vcc, s10, v212
	v_addc_co_u32_e32 v15, vcc, 0, v213, vcc
	s_mov_b32 s10, 0x1b000
	s_waitcnt vmcnt(0) lgkmcnt(1)
	v_mul_f64 v[10:11], v[4:5], v[8:9]
	v_mul_f64 v[12:13], v[2:3], v[8:9]
	v_fma_f64 v[10:11], v[2:3], v[6:7], -v[10:11]
	v_fmac_f64_e32 v[12:13], v[4:5], v[6:7]
	global_load_dwordx4 v[6:9], v[16:17], off offset:3504
	ds_read_b128 v[2:5], v189 offset:50000
	ds_write_b128 v189, v[10:13] offset:30000
	v_add_co_u32_e32 v16, vcc, s10, v212
	v_addc_co_u32_e32 v17, vcc, 0, v213, vcc
	s_mov_b32 s10, 0x12000
	s_waitcnt vmcnt(0) lgkmcnt(1)
	v_mul_f64 v[10:11], v[4:5], v[8:9]
	v_mul_f64 v[12:13], v[2:3], v[8:9]
	v_fma_f64 v[10:11], v[2:3], v[6:7], -v[10:11]
	v_fmac_f64_e32 v[12:13], v[4:5], v[6:7]
	global_load_dwordx4 v[6:9], v[18:19], off offset:2368
	ds_read_b128 v[2:5], v189 offset:12000
	ds_write_b128 v189, v[10:13] offset:50000
	;; [unrolled: 11-line block ×3, first 2 shown]
	s_waitcnt vmcnt(0) lgkmcnt(1)
	v_mul_f64 v[10:11], v[4:5], v[8:9]
	v_mul_f64 v[12:13], v[2:3], v[8:9]
	v_fma_f64 v[10:11], v[2:3], v[6:7], -v[10:11]
	v_fmac_f64_e32 v[12:13], v[4:5], v[6:7]
	global_load_dwordx4 v[6:9], v[16:17], off offset:1408
	ds_read_b128 v[2:5], v189 offset:52000
	ds_write_b128 v189, v[10:13] offset:32000
	s_waitcnt vmcnt(0) lgkmcnt(1)
	v_mul_f64 v[10:11], v[4:5], v[8:9]
	v_mul_f64 v[12:13], v[2:3], v[8:9]
	v_fma_f64 v[10:11], v[2:3], v[6:7], -v[10:11]
	v_fmac_f64_e32 v[12:13], v[4:5], v[6:7]
	global_load_dwordx4 v[6:9], v[18:19], off offset:272
	ds_read_b128 v[2:5], v189 offset:14000
	ds_write_b128 v189, v[10:13] offset:52000
	;; [unrolled: 8-line block ×4, first 2 shown]
	s_waitcnt vmcnt(0) lgkmcnt(1)
	v_mul_f64 v[10:11], v[4:5], v[8:9]
	v_mul_f64 v[12:13], v[2:3], v[8:9]
	v_fma_f64 v[10:11], v[2:3], v[6:7], -v[10:11]
	v_fmac_f64_e32 v[12:13], v[4:5], v[6:7]
	global_load_dwordx4 v[6:9], v[18:19], off offset:2272
	ds_read_b128 v[2:5], v189 offset:16000
	v_add_co_u32_e32 v18, vcc, s10, v212
	ds_write_b128 v189, v[10:13] offset:54000
	v_addc_co_u32_e32 v19, vcc, 0, v213, vcc
	s_mov_b32 s10, 0x1c000
	s_waitcnt vmcnt(0) lgkmcnt(1)
	v_mul_f64 v[10:11], v[4:5], v[8:9]
	v_mul_f64 v[12:13], v[2:3], v[8:9]
	v_fma_f64 v[10:11], v[2:3], v[6:7], -v[10:11]
	v_fmac_f64_e32 v[12:13], v[4:5], v[6:7]
	global_load_dwordx4 v[6:9], v[18:19], off offset:1792
	ds_read_b128 v[2:5], v189 offset:36000
	ds_write_b128 v189, v[10:13] offset:16000
	s_waitcnt vmcnt(0) lgkmcnt(1)
	v_mul_f64 v[12:13], v[2:3], v[8:9]
	v_mul_f64 v[10:11], v[4:5], v[8:9]
	v_fmac_f64_e32 v[12:13], v[4:5], v[6:7]
	v_add_co_u32_e32 v4, vcc, s10, v212
	v_fma_f64 v[10:11], v[2:3], v[6:7], -v[10:11]
	v_addc_co_u32_e32 v5, vcc, 0, v213, vcc
	ds_write_b128 v189, v[10:13] offset:36000
	global_load_dwordx4 v[10:13], v[4:5], off offset:1312
	ds_read_b128 v[6:9], v189 offset:56000
	s_waitcnt vmcnt(0) lgkmcnt(0)
	v_mul_f64 v[2:3], v[8:9], v[12:13]
	v_fma_f64 v[14:15], v[6:7], v[10:11], -v[2:3]
	global_load_dwordx4 v[0:3], v[0:1], off offset:176
	v_mul_f64 v[16:17], v[6:7], v[12:13]
	v_fmac_f64_e32 v[16:17], v[8:9], v[10:11]
	ds_read_b128 v[6:9], v189 offset:18000
	ds_write_b128 v189, v[14:17] offset:56000
	s_waitcnt vmcnt(0) lgkmcnt(1)
	v_mul_f64 v[10:11], v[8:9], v[2:3]
	v_mul_f64 v[12:13], v[6:7], v[2:3]
	v_fma_f64 v[10:11], v[6:7], v[0:1], -v[10:11]
	v_fmac_f64_e32 v[12:13], v[8:9], v[0:1]
	global_load_dwordx4 v[6:9], v[18:19], off offset:3792
	ds_read_b128 v[0:3], v189 offset:38000
	ds_write_b128 v189, v[10:13] offset:18000
	s_waitcnt vmcnt(0) lgkmcnt(1)
	v_mul_f64 v[10:11], v[2:3], v[8:9]
	v_mul_f64 v[12:13], v[0:1], v[8:9]
	v_fma_f64 v[10:11], v[0:1], v[6:7], -v[10:11]
	v_fmac_f64_e32 v[12:13], v[2:3], v[6:7]
	global_load_dwordx4 v[4:7], v[4:5], off offset:3312
	ds_read_b128 v[0:3], v189 offset:58000
	ds_write_b128 v189, v[10:13] offset:38000
	s_waitcnt vmcnt(0) lgkmcnt(1)
	v_mul_f64 v[8:9], v[2:3], v[6:7]
	v_mul_f64 v[10:11], v[0:1], v[6:7]
	v_fma_f64 v[8:9], v[0:1], v[4:5], -v[8:9]
	v_fmac_f64_e32 v[10:11], v[2:3], v[4:5]
	ds_write_b128 v189, v[8:11] offset:58000
	s_waitcnt lgkmcnt(0)
	s_barrier
	ds_read_b128 v[36:39], v189
	ds_read_b128 v[96:99], v189 offset:20000
	ds_read_b128 v[100:103], v189 offset:40000
	;; [unrolled: 1-line block ×29, first 2 shown]
	s_waitcnt lgkmcnt(14)
	v_add_f64 v[122:123], v[96:97], v[100:101]
	v_add_f64 v[120:121], v[36:37], v[96:97]
	v_fmac_f64_e32 v[36:37], -0.5, v[122:123]
	v_add_f64 v[122:123], v[98:99], -v[102:103]
	v_fma_f64 v[124:125], s[18:19], v[122:123], v[36:37]
	v_fmac_f64_e32 v[36:37], s[16:17], v[122:123]
	v_add_f64 v[122:123], v[38:39], v[98:99]
	v_add_f64 v[98:99], v[98:99], v[102:103]
	v_fmac_f64_e32 v[38:39], -0.5, v[98:99]
	v_add_f64 v[96:97], v[96:97], -v[100:101]
	v_fma_f64 v[126:127], s[16:17], v[96:97], v[38:39]
	v_fmac_f64_e32 v[38:39], s[18:19], v[96:97]
	v_add_f64 v[96:97], v[32:33], v[112:113]
	v_add_f64 v[120:121], v[120:121], v[100:101]
	v_add_f64 v[100:101], v[96:97], v[116:117]
	v_add_f64 v[96:97], v[112:113], v[116:117]
	v_fmac_f64_e32 v[32:33], -0.5, v[96:97]
	v_add_f64 v[98:99], v[114:115], -v[118:119]
	v_fma_f64 v[96:97], s[18:19], v[98:99], v[32:33]
	v_fmac_f64_e32 v[32:33], s[16:17], v[98:99]
	v_add_f64 v[98:99], v[34:35], v[114:115]
	v_add_f64 v[122:123], v[122:123], v[102:103]
	;; [unrolled: 8-line block ×3, first 2 shown]
	v_add_f64 v[112:113], v[88:89], v[92:93]
	v_fmac_f64_e32 v[28:29], -0.5, v[112:113]
	v_add_f64 v[114:115], v[90:91], -v[94:95]
	v_fma_f64 v[112:113], s[18:19], v[114:115], v[28:29]
	v_fmac_f64_e32 v[28:29], s[16:17], v[114:115]
	v_add_f64 v[114:115], v[30:31], v[90:91]
	v_add_f64 v[90:91], v[90:91], v[94:95]
	v_fmac_f64_e32 v[30:31], -0.5, v[90:91]
	v_add_f64 v[88:89], v[88:89], -v[92:93]
	v_add_f64 v[90:91], v[104:105], v[108:109]
	v_add_f64 v[118:119], v[114:115], v[94:95]
	v_fma_f64 v[114:115], s[16:17], v[88:89], v[30:31]
	v_fmac_f64_e32 v[30:31], s[18:19], v[88:89]
	v_add_f64 v[88:89], v[24:25], v[104:105]
	v_fmac_f64_e32 v[24:25], -0.5, v[90:91]
	v_add_f64 v[90:91], v[106:107], -v[110:111]
	v_add_f64 v[94:95], v[106:107], v[110:111]
	v_fma_f64 v[92:93], s[18:19], v[90:91], v[24:25]
	v_fmac_f64_e32 v[24:25], s[16:17], v[90:91]
	v_add_f64 v[90:91], v[26:27], v[106:107]
	v_fmac_f64_e32 v[26:27], -0.5, v[94:95]
	v_add_f64 v[104:105], v[104:105], -v[108:109]
	v_fma_f64 v[94:95], s[16:17], v[104:105], v[26:27]
	v_fmac_f64_e32 v[26:27], s[18:19], v[104:105]
	v_add_f64 v[104:105], v[20:21], v[80:81]
	v_add_f64 v[88:89], v[88:89], v[108:109]
	;; [unrolled: 1-line block ×4, first 2 shown]
	v_fmac_f64_e32 v[20:21], -0.5, v[104:105]
	v_add_f64 v[106:107], v[82:83], -v[86:87]
	v_fma_f64 v[104:105], s[18:19], v[106:107], v[20:21]
	v_fmac_f64_e32 v[20:21], s[16:17], v[106:107]
	v_add_f64 v[106:107], v[22:23], v[82:83]
	v_add_f64 v[82:83], v[82:83], v[86:87]
	v_fmac_f64_e32 v[22:23], -0.5, v[82:83]
	v_add_f64 v[80:81], v[80:81], -v[84:85]
	v_add_f64 v[90:91], v[90:91], v[110:111]
	v_add_f64 v[110:111], v[106:107], v[86:87]
	v_fma_f64 v[106:107], s[16:17], v[80:81], v[22:23]
	v_fmac_f64_e32 v[22:23], s[18:19], v[80:81]
	s_waitcnt lgkmcnt(13)
	v_add_f64 v[80:81], v[16:17], v[72:73]
	s_waitcnt lgkmcnt(12)
	v_add_f64 v[84:85], v[80:81], v[76:77]
	v_add_f64 v[80:81], v[72:73], v[76:77]
	v_fmac_f64_e32 v[16:17], -0.5, v[80:81]
	v_add_f64 v[82:83], v[74:75], -v[78:79]
	v_fma_f64 v[80:81], s[18:19], v[82:83], v[16:17]
	v_fmac_f64_e32 v[16:17], s[16:17], v[82:83]
	v_add_f64 v[82:83], v[18:19], v[74:75]
	v_add_f64 v[74:75], v[74:75], v[78:79]
	v_fmac_f64_e32 v[18:19], -0.5, v[74:75]
	v_add_f64 v[72:73], v[72:73], -v[76:77]
	v_add_f64 v[86:87], v[82:83], v[78:79]
	v_fma_f64 v[82:83], s[16:17], v[72:73], v[18:19]
	v_fmac_f64_e32 v[18:19], s[18:19], v[72:73]
	s_waitcnt lgkmcnt(10)
	v_add_f64 v[72:73], v[12:13], v[64:65]
	s_waitcnt lgkmcnt(9)
	v_add_f64 v[76:77], v[72:73], v[68:69]
	v_add_f64 v[72:73], v[64:65], v[68:69]
	v_fmac_f64_e32 v[12:13], -0.5, v[72:73]
	v_add_f64 v[74:75], v[66:67], -v[70:71]
	v_fma_f64 v[72:73], s[18:19], v[74:75], v[12:13]
	v_fmac_f64_e32 v[12:13], s[16:17], v[74:75]
	v_add_f64 v[74:75], v[14:15], v[66:67]
	v_add_f64 v[66:67], v[66:67], v[70:71]
	v_fmac_f64_e32 v[14:15], -0.5, v[66:67]
	v_add_f64 v[64:65], v[64:65], -v[68:69]
	;; [unrolled: 16-line block ×5, first 2 shown]
	v_add_f64 v[54:55], v[50:51], v[46:47]
	v_fma_f64 v[50:51], s[16:17], v[40:41], v[2:3]
	v_fmac_f64_e32 v[2:3], s[18:19], v[40:41]
	s_barrier
	buffer_load_dword v40, off, s[28:31], 0 offset:4 ; 4-byte Folded Reload
	s_waitcnt vmcnt(0)
	ds_write_b128 v40, v[120:123]
	ds_write_b128 v40, v[124:127] offset:16
	ds_write_b128 v40, v[36:39] offset:32
	buffer_load_dword v36, off, s[28:31], 0 offset:20 ; 4-byte Folded Reload
	s_waitcnt vmcnt(0)
	ds_write_b128 v36, v[100:103]
	ds_write_b128 v36, v[96:99] offset:16
	ds_write_b128 v36, v[32:35] offset:32
	;; [unrolled: 5-line block ×7, first 2 shown]
	buffer_load_dword v12, off, s[28:31], 0 ; 4-byte Folded Reload
	s_waitcnt vmcnt(0)
	ds_write_b128 v12, v[68:71]
	ds_write_b128 v12, v[64:67] offset:16
	ds_write_b128 v12, v[8:11] offset:32
	buffer_load_dword v8, off, s[28:31], 0 offset:12 ; 4-byte Folded Reload
	s_waitcnt vmcnt(0)
	ds_write_b128 v8, v[60:63]
	ds_write_b128 v8, v[56:59] offset:16
	ds_write_b128 v8, v[4:7] offset:32
	buffer_load_dword v4, off, s[28:31], 0 offset:8 ; 4-byte Folded Reload
	s_waitcnt vmcnt(0)
	ds_write_b128 v4, v[52:55]
	ds_write_b128 v4, v[48:51] offset:16
	ds_write_b128 v4, v[0:3] offset:32
	s_waitcnt lgkmcnt(0)
	s_barrier
	ds_read_b128 v[20:23], v189
	ds_read_b128 v[116:119], v189 offset:12000
	ds_read_b128 v[112:115], v189 offset:24000
	;; [unrolled: 1-line block ×29, first 2 shown]
	buffer_load_dword v6, off, s[28:31], 0 offset:604 ; 4-byte Folded Reload
	buffer_load_dword v7, off, s[28:31], 0 offset:608 ; 4-byte Folded Reload
	;; [unrolled: 1-line block ×4, first 2 shown]
	s_waitcnt vmcnt(0) lgkmcnt(14)
	v_mul_f64 v[222:223], v[8:9], v[118:119]
	v_mul_f64 v[4:5], v[8:9], v[116:117]
	buffer_load_dword v8, off, s[28:31], 0 offset:588 ; 4-byte Folded Reload
	buffer_load_dword v9, off, s[28:31], 0 offset:592 ; 4-byte Folded Reload
	;; [unrolled: 1-line block ×4, first 2 shown]
	v_fmac_f64_e32 v[222:223], v[6:7], v[116:117]
	v_fma_f64 v[216:217], v[6:7], v[118:119], -v[4:5]
	s_waitcnt vmcnt(0)
	v_mul_f64 v[4:5], v[10:11], v[114:115]
	v_mul_f64 v[6:7], v[10:11], v[112:113]
	v_fmac_f64_e32 v[4:5], v[8:9], v[112:113]
	v_fma_f64 v[220:221], v[8:9], v[114:115], -v[6:7]
	buffer_load_dword v112, off, s[28:31], 0 offset:572 ; 4-byte Folded Reload
	buffer_load_dword v113, off, s[28:31], 0 offset:576 ; 4-byte Folded Reload
	buffer_load_dword v114, off, s[28:31], 0 offset:580 ; 4-byte Folded Reload
	buffer_load_dword v115, off, s[28:31], 0 offset:584 ; 4-byte Folded Reload
	s_waitcnt vmcnt(0)
	v_mul_f64 v[8:9], v[114:115], v[110:111]
	v_mul_f64 v[6:7], v[114:115], v[108:109]
	v_fmac_f64_e32 v[8:9], v[112:113], v[108:109]
	v_fma_f64 v[226:227], v[112:113], v[110:111], -v[6:7]
	buffer_load_dword v108, off, s[28:31], 0 offset:556 ; 4-byte Folded Reload
	buffer_load_dword v109, off, s[28:31], 0 offset:560 ; 4-byte Folded Reload
	buffer_load_dword v110, off, s[28:31], 0 offset:564 ; 4-byte Folded Reload
	buffer_load_dword v111, off, s[28:31], 0 offset:568 ; 4-byte Folded Reload
	s_waitcnt vmcnt(0)
	v_mul_f64 v[10:11], v[110:111], v[106:107]
	v_mul_f64 v[6:7], v[110:111], v[104:105]
	v_fmac_f64_e32 v[10:11], v[108:109], v[104:105]
	v_fma_f64 v[6:7], v[108:109], v[106:107], -v[6:7]
	buffer_load_dword v104, off, s[28:31], 0 offset:668 ; 4-byte Folded Reload
	buffer_load_dword v105, off, s[28:31], 0 offset:672 ; 4-byte Folded Reload
	buffer_load_dword v106, off, s[28:31], 0 offset:676 ; 4-byte Folded Reload
	buffer_load_dword v107, off, s[28:31], 0 offset:680 ; 4-byte Folded Reload
	s_waitcnt vmcnt(0)
	v_mul_f64 v[130:131], v[106:107], v[102:103]
	v_fmac_f64_e32 v[130:131], v[104:105], v[100:101]
	v_mul_f64 v[100:101], v[106:107], v[100:101]
	v_fma_f64 v[104:105], v[104:105], v[102:103], -v[100:101]
	buffer_load_dword v100, off, s[28:31], 0 offset:652 ; 4-byte Folded Reload
	buffer_load_dword v101, off, s[28:31], 0 offset:656 ; 4-byte Folded Reload
	buffer_load_dword v102, off, s[28:31], 0 offset:660 ; 4-byte Folded Reload
	buffer_load_dword v103, off, s[28:31], 0 offset:664 ; 4-byte Folded Reload
	s_waitcnt vmcnt(0)
	v_mul_f64 v[212:213], v[102:103], v[98:99]
	v_fmac_f64_e32 v[212:213], v[100:101], v[96:97]
	v_mul_f64 v[96:97], v[102:103], v[96:97]
	v_fma_f64 v[106:107], v[100:101], v[98:99], -v[96:97]
	buffer_load_dword v96, off, s[28:31], 0 offset:636 ; 4-byte Folded Reload
	buffer_load_dword v97, off, s[28:31], 0 offset:640 ; 4-byte Folded Reload
	buffer_load_dword v98, off, s[28:31], 0 offset:644 ; 4-byte Folded Reload
	buffer_load_dword v99, off, s[28:31], 0 offset:648 ; 4-byte Folded Reload
	;; [unrolled: 9-line block ×8, first 2 shown]
	s_waitcnt vmcnt(0) lgkmcnt(13)
	v_mul_f64 v[74:75], v[80:81], v[70:71]
	v_fmac_f64_e32 v[74:75], v[78:79], v[68:69]
	v_mul_f64 v[68:69], v[80:81], v[68:69]
	v_fma_f64 v[80:81], v[78:79], v[70:71], -v[68:69]
	buffer_load_dword v68, off, s[28:31], 0 offset:764 ; 4-byte Folded Reload
	buffer_load_dword v69, off, s[28:31], 0 offset:768 ; 4-byte Folded Reload
	buffer_load_dword v70, off, s[28:31], 0 offset:772 ; 4-byte Folded Reload
	buffer_load_dword v71, off, s[28:31], 0 offset:776 ; 4-byte Folded Reload
	s_waitcnt vmcnt(0) lgkmcnt(12)
	v_mul_f64 v[78:79], v[70:71], v[66:67]
	v_fmac_f64_e32 v[78:79], v[68:69], v[64:65]
	v_mul_f64 v[64:65], v[70:71], v[64:65]
	v_fma_f64 v[84:85], v[68:69], v[66:67], -v[64:65]
	buffer_load_dword v64, off, s[28:31], 0 offset:780 ; 4-byte Folded Reload
	buffer_load_dword v65, off, s[28:31], 0 offset:784 ; 4-byte Folded Reload
	buffer_load_dword v66, off, s[28:31], 0 offset:788 ; 4-byte Folded Reload
	buffer_load_dword v67, off, s[28:31], 0 offset:792 ; 4-byte Folded Reload
	;; [unrolled: 9-line block ×3, first 2 shown]
	s_waitcnt lgkmcnt(0)
	s_barrier
	s_waitcnt vmcnt(0)
	v_mul_f64 v[146:147], v[62:63], v[58:59]
	v_fmac_f64_e32 v[146:147], v[60:61], v[56:57]
	v_mul_f64 v[56:57], v[62:63], v[56:57]
	v_fma_f64 v[114:115], v[60:61], v[58:59], -v[56:57]
	v_accvgpr_read_b32 v56, a228
	v_accvgpr_read_b32 v58, a230
	v_accvgpr_read_b32 v59, a231
	v_accvgpr_read_b32 v57, a229
	v_mul_f64 v[82:83], v[58:59], v[54:55]
	v_fmac_f64_e32 v[82:83], v[56:57], v[52:53]
	v_mul_f64 v[52:53], v[58:59], v[52:53]
	v_fma_f64 v[88:89], v[56:57], v[54:55], -v[52:53]
	v_accvgpr_read_b32 v52, a200
	v_accvgpr_read_b32 v54, a202
	v_accvgpr_read_b32 v55, a203
	v_accvgpr_read_b32 v53, a201
	;; [unrolled: 8-line block ×6, first 2 shown]
	v_mul_f64 v[94:95], v[30:31], v[134:135]
	v_mul_f64 v[12:13], v[30:31], v[132:133]
	v_fmac_f64_e32 v[94:95], v[28:29], v[132:133]
	v_fma_f64 v[122:123], v[28:29], v[134:135], -v[12:13]
	v_accvgpr_read_b32 v28, a220
	v_accvgpr_read_b32 v30, a222
	v_accvgpr_read_b32 v31, a223
	v_accvgpr_read_b32 v29, a221
	v_mul_f64 v[132:133], v[30:31], v[126:127]
	v_mul_f64 v[12:13], v[30:31], v[124:125]
	v_fmac_f64_e32 v[132:133], v[28:29], v[124:125]
	v_fma_f64 v[124:125], v[28:29], v[126:127], -v[12:13]
	v_accvgpr_read_b32 v12, a224
	v_accvgpr_read_b32 v14, a226
	;; [unrolled: 1-line block ×4, first 2 shown]
	v_mul_f64 v[134:135], v[14:15], v[2:3]
	v_fmac_f64_e32 v[134:135], v[12:13], v[0:1]
	v_mul_f64 v[0:1], v[14:15], v[0:1]
	v_fma_f64 v[126:127], v[12:13], v[2:3], -v[0:1]
	v_add_f64 v[0:1], v[20:21], v[222:223]
	v_add_f64 v[0:1], v[0:1], v[4:5]
	;; [unrolled: 1-line block ×5, first 2 shown]
	v_fma_f64 v[0:1], -0.5, v[0:1], v[20:21]
	v_add_f64 v[2:3], v[216:217], -v[6:7]
	v_fma_f64 v[48:49], s[14:15], v[2:3], v[0:1]
	v_add_f64 v[12:13], v[220:221], -v[226:227]
	v_add_f64 v[14:15], v[222:223], -v[4:5]
	;; [unrolled: 1-line block ×3, first 2 shown]
	v_fmac_f64_e32 v[0:1], s[2:3], v[2:3]
	v_fmac_f64_e32 v[48:49], s[8:9], v[12:13]
	v_add_f64 v[14:15], v[14:15], v[28:29]
	v_fmac_f64_e32 v[0:1], s[6:7], v[12:13]
	v_fmac_f64_e32 v[48:49], s[4:5], v[14:15]
	;; [unrolled: 1-line block ×3, first 2 shown]
	v_add_f64 v[14:15], v[222:223], v[10:11]
	v_fmac_f64_e32 v[20:21], -0.5, v[14:15]
	v_fma_f64 v[56:57], s[2:3], v[12:13], v[20:21]
	v_fmac_f64_e32 v[20:21], s[14:15], v[12:13]
	v_fmac_f64_e32 v[56:57], s[8:9], v[2:3]
	;; [unrolled: 1-line block ×3, first 2 shown]
	v_add_f64 v[2:3], v[22:23], v[216:217]
	v_add_f64 v[2:3], v[2:3], v[220:221]
	;; [unrolled: 1-line block ×5, first 2 shown]
	v_add_f64 v[28:29], v[8:9], -v[10:11]
	v_fma_f64 v[2:3], -0.5, v[2:3], v[22:23]
	v_add_f64 v[10:11], v[222:223], -v[10:11]
	v_add_f64 v[14:15], v[4:5], -v[222:223]
	v_fma_f64 v[50:51], s[2:3], v[10:11], v[2:3]
	v_add_f64 v[4:5], v[4:5], -v[8:9]
	v_add_f64 v[8:9], v[216:217], -v[220:221]
	;; [unrolled: 1-line block ×3, first 2 shown]
	v_fmac_f64_e32 v[2:3], s[14:15], v[10:11]
	v_fmac_f64_e32 v[50:51], s[6:7], v[4:5]
	v_add_f64 v[8:9], v[8:9], v[12:13]
	v_fmac_f64_e32 v[2:3], s[8:9], v[4:5]
	v_fmac_f64_e32 v[50:51], s[4:5], v[8:9]
	;; [unrolled: 1-line block ×3, first 2 shown]
	v_add_f64 v[8:9], v[216:217], v[6:7]
	v_fmac_f64_e32 v[22:23], -0.5, v[8:9]
	v_fma_f64 v[58:59], s[14:15], v[4:5], v[22:23]
	v_fmac_f64_e32 v[22:23], s[2:3], v[4:5]
	v_add_f64 v[4:5], v[16:17], v[130:131]
	v_add_f64 v[4:5], v[4:5], v[212:213]
	v_add_f64 v[8:9], v[220:221], -v[216:217]
	v_add_f64 v[6:7], v[226:227], -v[6:7]
	v_add_f64 v[4:5], v[4:5], v[218:219]
	v_fmac_f64_e32 v[58:59], s[6:7], v[10:11]
	v_add_f64 v[6:7], v[8:9], v[6:7]
	v_fmac_f64_e32 v[22:23], s[8:9], v[10:11]
	v_add_f64 v[100:101], v[4:5], v[224:225]
	v_add_f64 v[4:5], v[212:213], v[218:219]
	v_fmac_f64_e32 v[58:59], s[4:5], v[6:7]
	v_fmac_f64_e32 v[22:23], s[4:5], v[6:7]
	v_fma_f64 v[4:5], -0.5, v[4:5], v[16:17]
	v_add_f64 v[6:7], v[104:105], -v[214:215]
	v_fma_f64 v[52:53], s[14:15], v[6:7], v[4:5]
	v_add_f64 v[8:9], v[106:107], -v[154:155]
	v_add_f64 v[10:11], v[130:131], -v[212:213]
	;; [unrolled: 1-line block ×3, first 2 shown]
	v_fmac_f64_e32 v[4:5], s[2:3], v[6:7]
	v_fmac_f64_e32 v[52:53], s[8:9], v[8:9]
	v_add_f64 v[10:11], v[10:11], v[12:13]
	v_fmac_f64_e32 v[4:5], s[6:7], v[8:9]
	v_fmac_f64_e32 v[52:53], s[4:5], v[10:11]
	;; [unrolled: 1-line block ×3, first 2 shown]
	v_add_f64 v[10:11], v[130:131], v[224:225]
	v_fmac_f64_e32 v[16:17], -0.5, v[10:11]
	v_fma_f64 v[60:61], s[2:3], v[8:9], v[16:17]
	v_fmac_f64_e32 v[16:17], s[14:15], v[8:9]
	v_fmac_f64_e32 v[60:61], s[8:9], v[6:7]
	v_fmac_f64_e32 v[16:17], s[6:7], v[6:7]
	v_add_f64 v[6:7], v[18:19], v[104:105]
	v_add_f64 v[6:7], v[6:7], v[106:107]
	;; [unrolled: 1-line block ×3, first 2 shown]
	v_add_f64 v[10:11], v[212:213], -v[130:131]
	v_add_f64 v[12:13], v[218:219], -v[224:225]
	v_add_f64 v[102:103], v[6:7], v[214:215]
	v_add_f64 v[6:7], v[106:107], v[154:155]
	;; [unrolled: 1-line block ×4, first 2 shown]
	v_fma_f64 v[6:7], -0.5, v[6:7], v[18:19]
	v_add_f64 v[8:9], v[130:131], -v[224:225]
	v_fmac_f64_e32 v[56:57], s[4:5], v[14:15]
	v_fmac_f64_e32 v[20:21], s[4:5], v[14:15]
	;; [unrolled: 1-line block ×4, first 2 shown]
	v_fma_f64 v[54:55], s[2:3], v[8:9], v[6:7]
	v_add_f64 v[10:11], v[212:213], -v[218:219]
	v_add_f64 v[12:13], v[104:105], -v[106:107]
	v_add_f64 v[14:15], v[214:215], -v[154:155]
	v_fmac_f64_e32 v[6:7], s[14:15], v[8:9]
	v_fmac_f64_e32 v[54:55], s[6:7], v[10:11]
	v_add_f64 v[12:13], v[12:13], v[14:15]
	v_fmac_f64_e32 v[6:7], s[8:9], v[10:11]
	v_fmac_f64_e32 v[54:55], s[4:5], v[12:13]
	v_fmac_f64_e32 v[6:7], s[4:5], v[12:13]
	v_add_f64 v[12:13], v[104:105], v[214:215]
	v_fmac_f64_e32 v[18:19], -0.5, v[12:13]
	v_fma_f64 v[62:63], s[14:15], v[10:11], v[18:19]
	v_fmac_f64_e32 v[18:19], s[2:3], v[10:11]
	v_fmac_f64_e32 v[62:63], s[6:7], v[8:9]
	v_fmac_f64_e32 v[18:19], s[8:9], v[8:9]
	v_add_f64 v[8:9], v[24:25], v[148:149]
	v_add_f64 v[8:9], v[8:9], v[150:151]
	v_add_f64 v[8:9], v[8:9], v[152:153]
	v_add_f64 v[12:13], v[106:107], -v[104:105]
	v_add_f64 v[14:15], v[154:155], -v[214:215]
	v_add_f64 v[104:105], v[8:9], v[128:129]
	v_add_f64 v[8:9], v[150:151], v[152:153]
	v_add_f64 v[12:13], v[12:13], v[14:15]
	v_fma_f64 v[8:9], -0.5, v[8:9], v[24:25]
	v_add_f64 v[10:11], v[108:109], -v[72:73]
	v_fmac_f64_e32 v[62:63], s[4:5], v[12:13]
	v_fmac_f64_e32 v[18:19], s[4:5], v[12:13]
	v_fma_f64 v[64:65], s[14:15], v[10:11], v[8:9]
	v_add_f64 v[12:13], v[110:111], -v[76:77]
	v_add_f64 v[14:15], v[148:149], -v[150:151]
	v_add_f64 v[28:29], v[128:129], -v[152:153]
	v_fmac_f64_e32 v[8:9], s[2:3], v[10:11]
	v_fmac_f64_e32 v[64:65], s[8:9], v[12:13]
	v_add_f64 v[14:15], v[14:15], v[28:29]
	v_fmac_f64_e32 v[8:9], s[6:7], v[12:13]
	v_fmac_f64_e32 v[64:65], s[4:5], v[14:15]
	v_fmac_f64_e32 v[8:9], s[4:5], v[14:15]
	v_add_f64 v[14:15], v[148:149], v[128:129]
	v_fmac_f64_e32 v[24:25], -0.5, v[14:15]
	v_fma_f64 v[68:69], s[2:3], v[12:13], v[24:25]
	v_fmac_f64_e32 v[24:25], s[14:15], v[12:13]
	v_fmac_f64_e32 v[68:69], s[8:9], v[10:11]
	v_fmac_f64_e32 v[24:25], s[6:7], v[10:11]
	v_add_f64 v[10:11], v[26:27], v[108:109]
	v_add_f64 v[10:11], v[10:11], v[110:111]
	v_add_f64 v[10:11], v[10:11], v[76:77]
	v_add_f64 v[14:15], v[150:151], -v[148:149]
	v_add_f64 v[28:29], v[152:153], -v[128:129]
	v_add_f64 v[106:107], v[10:11], v[72:73]
	v_add_f64 v[10:11], v[110:111], v[76:77]
	v_add_f64 v[14:15], v[14:15], v[28:29]
	v_fma_f64 v[10:11], -0.5, v[10:11], v[26:27]
	v_add_f64 v[12:13], v[148:149], -v[128:129]
	v_fmac_f64_e32 v[68:69], s[4:5], v[14:15]
	v_fmac_f64_e32 v[24:25], s[4:5], v[14:15]
	;; [unrolled: 28-line block ×3, first 2 shown]
	v_fma_f64 v[72:73], s[14:15], v[14:15], v[12:13]
	v_add_f64 v[28:29], v[84:85], -v[112:113]
	v_add_f64 v[30:31], v[74:75], -v[78:79]
	;; [unrolled: 1-line block ×3, first 2 shown]
	v_fmac_f64_e32 v[12:13], s[2:3], v[14:15]
	v_fmac_f64_e32 v[72:73], s[8:9], v[28:29]
	v_add_f64 v[30:31], v[30:31], v[76:77]
	v_fmac_f64_e32 v[12:13], s[6:7], v[28:29]
	v_fmac_f64_e32 v[72:73], s[4:5], v[30:31]
	;; [unrolled: 1-line block ×3, first 2 shown]
	v_add_f64 v[30:31], v[74:75], v[146:147]
	v_fmac_f64_e32 v[32:33], -0.5, v[30:31]
	v_fma_f64 v[76:77], s[2:3], v[28:29], v[32:33]
	v_fmac_f64_e32 v[32:33], s[14:15], v[28:29]
	v_fmac_f64_e32 v[76:77], s[8:9], v[14:15]
	;; [unrolled: 1-line block ×3, first 2 shown]
	v_add_f64 v[14:15], v[34:35], v[80:81]
	v_add_f64 v[14:15], v[14:15], v[84:85]
	v_add_f64 v[30:31], v[78:79], -v[74:75]
	v_add_f64 v[110:111], v[136:137], -v[146:147]
	v_add_f64 v[14:15], v[14:15], v[112:113]
	v_add_f64 v[30:31], v[30:31], v[110:111]
	;; [unrolled: 1-line block ×4, first 2 shown]
	v_fma_f64 v[14:15], -0.5, v[14:15], v[34:35]
	v_add_f64 v[28:29], v[74:75], -v[146:147]
	v_fmac_f64_e32 v[76:77], s[4:5], v[30:31]
	v_fmac_f64_e32 v[32:33], s[4:5], v[30:31]
	v_fma_f64 v[74:75], s[2:3], v[28:29], v[14:15]
	v_add_f64 v[30:31], v[78:79], -v[136:137]
	v_add_f64 v[78:79], v[80:81], -v[84:85]
	v_add_f64 v[128:129], v[114:115], -v[112:113]
	v_fmac_f64_e32 v[14:15], s[14:15], v[28:29]
	v_fmac_f64_e32 v[74:75], s[6:7], v[30:31]
	v_add_f64 v[78:79], v[78:79], v[128:129]
	v_fmac_f64_e32 v[14:15], s[8:9], v[30:31]
	v_fmac_f64_e32 v[74:75], s[4:5], v[78:79]
	;; [unrolled: 1-line block ×3, first 2 shown]
	v_add_f64 v[78:79], v[80:81], v[114:115]
	v_fmac_f64_e32 v[34:35], -0.5, v[78:79]
	v_fma_f64 v[78:79], s[14:15], v[30:31], v[34:35]
	v_fmac_f64_e32 v[34:35], s[2:3], v[30:31]
	v_fmac_f64_e32 v[78:79], s[6:7], v[28:29]
	;; [unrolled: 1-line block ×3, first 2 shown]
	v_add_f64 v[28:29], v[40:41], v[82:83]
	v_add_f64 v[28:29], v[28:29], v[86:87]
	;; [unrolled: 1-line block ×3, first 2 shown]
	v_add_f64 v[80:81], v[84:85], -v[80:81]
	v_add_f64 v[84:85], v[112:113], -v[114:115]
	v_add_f64 v[112:113], v[28:29], v[118:119]
	v_add_f64 v[28:29], v[86:87], v[116:117]
	;; [unrolled: 1-line block ×3, first 2 shown]
	v_fma_f64 v[28:29], -0.5, v[28:29], v[40:41]
	v_add_f64 v[30:31], v[88:89], -v[38:39]
	v_fmac_f64_e32 v[78:79], s[4:5], v[80:81]
	v_fmac_f64_e32 v[34:35], s[4:5], v[80:81]
	v_fma_f64 v[80:81], s[14:15], v[30:31], v[28:29]
	v_add_f64 v[114:115], v[92:93], -v[36:37]
	v_add_f64 v[84:85], v[82:83], -v[86:87]
	;; [unrolled: 1-line block ×3, first 2 shown]
	v_fmac_f64_e32 v[28:29], s[2:3], v[30:31]
	v_fmac_f64_e32 v[80:81], s[8:9], v[114:115]
	v_add_f64 v[84:85], v[84:85], v[128:129]
	v_fmac_f64_e32 v[28:29], s[6:7], v[114:115]
	v_fmac_f64_e32 v[80:81], s[4:5], v[84:85]
	;; [unrolled: 1-line block ×3, first 2 shown]
	v_add_f64 v[84:85], v[82:83], v[118:119]
	v_fmac_f64_e32 v[40:41], -0.5, v[84:85]
	v_fma_f64 v[84:85], s[2:3], v[114:115], v[40:41]
	v_fmac_f64_e32 v[40:41], s[14:15], v[114:115]
	v_fmac_f64_e32 v[84:85], s[8:9], v[30:31]
	;; [unrolled: 1-line block ×3, first 2 shown]
	v_add_f64 v[30:31], v[42:43], v[88:89]
	v_add_f64 v[30:31], v[30:31], v[92:93]
	;; [unrolled: 1-line block ×3, first 2 shown]
	v_add_f64 v[128:129], v[86:87], -v[82:83]
	v_add_f64 v[130:131], v[116:117], -v[118:119]
	v_add_f64 v[114:115], v[30:31], v[38:39]
	v_add_f64 v[30:31], v[92:93], v[36:37]
	;; [unrolled: 1-line block ×3, first 2 shown]
	v_fma_f64 v[30:31], -0.5, v[30:31], v[42:43]
	v_add_f64 v[118:119], v[82:83], -v[118:119]
	v_fmac_f64_e32 v[84:85], s[4:5], v[128:129]
	v_fmac_f64_e32 v[40:41], s[4:5], v[128:129]
	v_fma_f64 v[82:83], s[2:3], v[118:119], v[30:31]
	v_add_f64 v[116:117], v[86:87], -v[116:117]
	v_add_f64 v[86:87], v[88:89], -v[92:93]
	;; [unrolled: 1-line block ×3, first 2 shown]
	v_fmac_f64_e32 v[30:31], s[14:15], v[118:119]
	v_fmac_f64_e32 v[82:83], s[6:7], v[116:117]
	v_add_f64 v[86:87], v[86:87], v[128:129]
	v_fmac_f64_e32 v[30:31], s[8:9], v[116:117]
	v_fmac_f64_e32 v[82:83], s[4:5], v[86:87]
	;; [unrolled: 1-line block ×3, first 2 shown]
	v_add_f64 v[86:87], v[88:89], v[38:39]
	v_fmac_f64_e32 v[42:43], -0.5, v[86:87]
	v_fma_f64 v[86:87], s[14:15], v[116:117], v[42:43]
	v_add_f64 v[88:89], v[92:93], -v[88:89]
	v_add_f64 v[36:37], v[36:37], -v[38:39]
	v_fmac_f64_e32 v[42:43], s[2:3], v[116:117]
	v_fmac_f64_e32 v[86:87], s[6:7], v[118:119]
	v_add_f64 v[36:37], v[88:89], v[36:37]
	v_fmac_f64_e32 v[42:43], s[8:9], v[118:119]
	v_fmac_f64_e32 v[86:87], s[4:5], v[36:37]
	;; [unrolled: 1-line block ×3, first 2 shown]
	v_add_f64 v[36:37], v[44:45], v[90:91]
	v_add_f64 v[36:37], v[36:37], v[94:95]
	;; [unrolled: 1-line block ×5, first 2 shown]
	v_fma_f64 v[36:37], -0.5, v[36:37], v[44:45]
	v_add_f64 v[38:39], v[120:121], -v[126:127]
	v_fma_f64 v[88:89], s[14:15], v[38:39], v[36:37]
	v_add_f64 v[118:119], v[122:123], -v[124:125]
	v_add_f64 v[92:93], v[90:91], -v[94:95]
	;; [unrolled: 1-line block ×3, first 2 shown]
	v_fmac_f64_e32 v[36:37], s[2:3], v[38:39]
	v_fmac_f64_e32 v[88:89], s[8:9], v[118:119]
	v_add_f64 v[92:93], v[92:93], v[128:129]
	v_fmac_f64_e32 v[36:37], s[6:7], v[118:119]
	v_fmac_f64_e32 v[88:89], s[4:5], v[92:93]
	;; [unrolled: 1-line block ×3, first 2 shown]
	v_add_f64 v[92:93], v[90:91], v[134:135]
	v_fmac_f64_e32 v[44:45], -0.5, v[92:93]
	v_fma_f64 v[92:93], s[2:3], v[118:119], v[44:45]
	v_fmac_f64_e32 v[44:45], s[14:15], v[118:119]
	v_fmac_f64_e32 v[92:93], s[8:9], v[38:39]
	;; [unrolled: 1-line block ×3, first 2 shown]
	v_add_f64 v[38:39], v[46:47], v[120:121]
	v_add_f64 v[38:39], v[38:39], v[122:123]
	v_add_f64 v[128:129], v[94:95], -v[90:91]
	v_add_f64 v[130:131], v[132:133], -v[134:135]
	v_add_f64 v[38:39], v[38:39], v[124:125]
	v_add_f64 v[128:129], v[128:129], v[130:131]
	;; [unrolled: 1-line block ×4, first 2 shown]
	v_fmac_f64_e32 v[92:93], s[4:5], v[128:129]
	v_fmac_f64_e32 v[44:45], s[4:5], v[128:129]
	v_fma_f64 v[38:39], -0.5, v[38:39], v[46:47]
	v_add_f64 v[128:129], v[90:91], -v[134:135]
	v_fma_f64 v[90:91], s[2:3], v[128:129], v[38:39]
	v_add_f64 v[130:131], v[94:95], -v[132:133]
	v_add_f64 v[94:95], v[120:121], -v[122:123]
	;; [unrolled: 1-line block ×3, first 2 shown]
	v_fmac_f64_e32 v[38:39], s[14:15], v[128:129]
	v_fmac_f64_e32 v[90:91], s[6:7], v[130:131]
	v_add_f64 v[94:95], v[94:95], v[132:133]
	v_fmac_f64_e32 v[38:39], s[8:9], v[130:131]
	v_fmac_f64_e32 v[90:91], s[4:5], v[94:95]
	v_fmac_f64_e32 v[38:39], s[4:5], v[94:95]
	v_add_f64 v[94:95], v[120:121], v[126:127]
	v_fmac_f64_e32 v[46:47], -0.5, v[94:95]
	v_fma_f64 v[94:95], s[14:15], v[130:131], v[46:47]
	v_add_f64 v[120:121], v[122:123], -v[120:121]
	v_add_f64 v[122:123], v[124:125], -v[126:127]
	v_fmac_f64_e32 v[46:47], s[2:3], v[130:131]
	v_fmac_f64_e32 v[94:95], s[6:7], v[128:129]
	v_add_f64 v[120:121], v[120:121], v[122:123]
	v_fmac_f64_e32 v[46:47], s[8:9], v[128:129]
	v_fmac_f64_e32 v[94:95], s[4:5], v[120:121]
	;; [unrolled: 1-line block ×3, first 2 shown]
	buffer_load_dword v120, off, s[28:31], 0 offset:288 ; 4-byte Folded Reload
	s_waitcnt vmcnt(0)
	ds_write_b128 v120, v[96:99]
	ds_write_b128 v120, v[48:51] offset:48
	ds_write_b128 v120, v[56:59] offset:96
	ds_write_b128 v120, v[20:23] offset:144
	ds_write_b128 v120, v[0:3] offset:192
	buffer_load_dword v0, off, s[28:31], 0 offset:292 ; 4-byte Folded Reload
	s_waitcnt vmcnt(0)
	ds_write_b128 v0, v[100:103]
	ds_write_b128 v0, v[52:55] offset:48
	ds_write_b128 v0, v[60:63] offset:96
	ds_write_b128 v0, v[16:19] offset:144
	ds_write_b128 v0, v[4:7] offset:192
	;; [unrolled: 7-line block ×5, first 2 shown]
	buffer_load_dword v0, off, s[28:31], 0 offset:540 ; 4-byte Folded Reload
	v_accvgpr_read_b32 v40, a234
	v_accvgpr_read_b32 v42, a236
	;; [unrolled: 1-line block ×3, first 2 shown]
	s_waitcnt vmcnt(0)
	ds_write_b128 v0, v[116:119]
	ds_write_b128 v0, v[88:91] offset:48
	ds_write_b128 v0, v[92:95] offset:96
	;; [unrolled: 1-line block ×4, first 2 shown]
	s_waitcnt lgkmcnt(0)
	s_barrier
	ds_read_b128 v[20:23], v189
	ds_read_b128 v[116:119], v189 offset:12000
	ds_read_b128 v[112:115], v189 offset:24000
	;; [unrolled: 1-line block ×29, first 2 shown]
	v_accvgpr_read_b32 v41, a235
	s_waitcnt lgkmcnt(14)
	v_mul_f64 v[64:65], v[42:43], v[118:119]
	v_mul_f64 v[0:1], v[42:43], v[116:117]
	v_fmac_f64_e32 v[64:65], v[40:41], v[116:117]
	v_fma_f64 v[2:3], v[40:41], v[118:119], -v[0:1]
	v_accvgpr_read_b32 v40, a238
	v_accvgpr_read_b32 v42, a240
	v_accvgpr_read_b32 v43, a241
	v_accvgpr_read_b32 v41, a239
	v_mul_f64 v[68:69], v[42:43], v[114:115]
	v_mul_f64 v[0:1], v[42:43], v[112:113]
	v_fmac_f64_e32 v[68:69], v[40:41], v[112:113]
	v_fma_f64 v[58:59], v[40:41], v[114:115], -v[0:1]
	v_accvgpr_read_b32 v40, a242
	v_accvgpr_read_b32 v42, a244
	v_accvgpr_read_b32 v43, a245
	v_accvgpr_read_b32 v41, a243
	;; [unrolled: 8-line block ×8, first 2 shown]
	v_mul_f64 v[90:91], v[94:95], v[86:87]
	v_fmac_f64_e32 v[90:91], v[92:93], v[84:85]
	v_mul_f64 v[0:1], v[94:95], v[84:85]
	v_accvgpr_read_b32 v82, a180
	v_accvgpr_read_b32 v84, a182
	;; [unrolled: 1-line block ×3, first 2 shown]
	v_fma_f64 v[226:227], v[92:93], v[86:87], -v[0:1]
	v_accvgpr_read_b32 v83, a181
	v_mul_f64 v[212:213], v[84:85], v[216:217]
	v_mul_f64 v[0:1], v[84:85], v[214:215]
	v_fmac_f64_e32 v[212:213], v[82:83], v[214:215]
	v_fma_f64 v[88:89], v[82:83], v[216:217], -v[0:1]
	v_accvgpr_read_b32 v82, a176
	v_accvgpr_read_b32 v84, a178
	;; [unrolled: 1-line block ×4, first 2 shown]
	v_mul_f64 v[0:1], v[84:85], v[78:79]
	v_mul_f64 v[40:41], v[84:85], v[76:77]
	v_fmac_f64_e32 v[0:1], v[82:83], v[76:77]
	v_fma_f64 v[76:77], v[82:83], v[78:79], -v[40:41]
	v_accvgpr_read_b32 v82, a172
	v_accvgpr_read_b32 v84, a174
	;; [unrolled: 1-line block ×4, first 2 shown]
	v_mul_f64 v[40:41], v[84:85], v[74:75]
	v_fmac_f64_e32 v[40:41], v[82:83], v[72:73]
	v_mul_f64 v[72:73], v[84:85], v[72:73]
	v_fma_f64 v[72:73], v[82:83], v[74:75], -v[72:73]
	v_accvgpr_read_b32 v82, a168
	v_accvgpr_read_b32 v84, a170
	;; [unrolled: 1-line block ×4, first 2 shown]
	s_waitcnt lgkmcnt(13)
	v_mul_f64 v[216:217], v[84:85], v[220:221]
	v_mul_f64 v[74:75], v[84:85], v[218:219]
	v_fmac_f64_e32 v[216:217], v[82:83], v[218:219]
	v_fma_f64 v[78:79], v[82:83], v[220:221], -v[74:75]
	v_accvgpr_read_b32 v82, a164
	v_accvgpr_read_b32 v84, a166
	;; [unrolled: 1-line block ×4, first 2 shown]
	s_waitcnt lgkmcnt(12)
	v_mul_f64 v[220:221], v[84:85], v[224:225]
	v_mul_f64 v[74:75], v[84:85], v[222:223]
	v_fmac_f64_e32 v[220:221], v[82:83], v[222:223]
	v_fma_f64 v[214:215], v[82:83], v[224:225], -v[74:75]
	v_accvgpr_read_b32 v82, a160
	v_accvgpr_read_b32 v84, a162
	;; [unrolled: 1-line block ×4, first 2 shown]
	s_waitcnt lgkmcnt(11)
	v_mul_f64 v[224:225], v[84:85], v[62:63]
	v_fmac_f64_e32 v[224:225], v[82:83], v[60:61]
	v_mul_f64 v[60:61], v[84:85], v[60:61]
	v_fma_f64 v[218:219], v[82:83], v[62:63], -v[60:61]
	v_accvgpr_read_b32 v82, a156
	v_accvgpr_read_b32 v84, a158
	v_accvgpr_read_b32 v85, a159
	v_accvgpr_read_b32 v83, a157
	s_waitcnt lgkmcnt(10)
	v_mul_f64 v[62:63], v[84:85], v[148:149]
	v_mul_f64 v[60:61], v[84:85], v[146:147]
	v_fmac_f64_e32 v[62:63], v[82:83], v[146:147]
	v_fma_f64 v[222:223], v[82:83], v[148:149], -v[60:61]
	v_accvgpr_read_b32 v82, a152
	v_accvgpr_read_b32 v84, a154
	v_accvgpr_read_b32 v85, a155
	v_accvgpr_read_b32 v83, a153
	s_waitcnt lgkmcnt(8)
	v_mul_f64 v[146:147], v[84:85], v[134:135]
	v_mul_f64 v[60:61], v[84:85], v[132:133]
	v_fmac_f64_e32 v[146:147], v[82:83], v[132:133]
	;; [unrolled: 9-line block ×3, first 2 shown]
	v_fma_f64 v[136:137], v[82:83], v[154:155], -v[60:61]
	v_accvgpr_read_b32 v82, a144
	v_accvgpr_read_b32 v84, a146
	;; [unrolled: 1-line block ×4, first 2 shown]
	s_waitcnt lgkmcnt(6)
	v_mul_f64 v[154:155], v[84:85], v[46:47]
	v_fmac_f64_e32 v[154:155], v[82:83], v[44:45]
	v_mul_f64 v[44:45], v[84:85], v[44:45]
	v_fma_f64 v[148:149], v[82:83], v[46:47], -v[44:45]
	v_accvgpr_read_b32 v82, a140
	v_accvgpr_read_b32 v84, a142
	;; [unrolled: 1-line block ×4, first 2 shown]
	s_waitcnt lgkmcnt(5)
	v_mul_f64 v[46:47], v[84:85], v[122:123]
	v_fmac_f64_e32 v[46:47], v[82:83], v[120:121]
	v_mul_f64 v[44:45], v[84:85], v[120:121]
	s_waitcnt lgkmcnt(3)
	v_mul_f64 v[120:121], v[230:231], v[38:39]
	v_fmac_f64_e32 v[120:121], v[228:229], v[36:37]
	v_mul_f64 v[36:37], v[230:231], v[36:37]
	v_fma_f64 v[116:117], v[228:229], v[38:39], -v[36:37]
	v_accvgpr_read_b32 v36, a136
	v_accvgpr_read_b32 v38, a138
	;; [unrolled: 1-line block ×4, first 2 shown]
	s_waitcnt lgkmcnt(2)
	v_mul_f64 v[124:125], v[38:39], v[34:35]
	v_fmac_f64_e32 v[124:125], v[36:37], v[32:33]
	v_mul_f64 v[32:33], v[38:39], v[32:33]
	v_fma_f64 v[118:119], v[36:37], v[34:35], -v[32:33]
	v_accvgpr_read_b32 v32, a132
	v_accvgpr_read_b32 v34, a134
	;; [unrolled: 1-line block ×4, first 2 shown]
	s_waitcnt lgkmcnt(1)
	v_mul_f64 v[132:133], v[34:35], v[30:31]
	v_fmac_f64_e32 v[132:133], v[32:33], v[28:29]
	v_mul_f64 v[28:29], v[34:35], v[28:29]
	v_fma_f64 v[152:153], v[82:83], v[122:123], -v[44:45]
	v_fma_f64 v[122:123], v[32:33], v[30:31], -v[28:29]
	v_accvgpr_read_b32 v32, a128
	v_accvgpr_read_b32 v34, a130
	;; [unrolled: 1-line block ×4, first 2 shown]
	s_waitcnt lgkmcnt(0)
	v_mul_f64 v[30:31], v[34:35], v[26:27]
	v_fmac_f64_e32 v[30:31], v[32:33], v[24:25]
	v_mul_f64 v[24:25], v[34:35], v[24:25]
	v_fma_f64 v[74:75], v[32:33], v[26:27], -v[24:25]
	v_add_f64 v[24:25], v[20:21], v[64:65]
	v_add_f64 v[24:25], v[24:25], v[68:69]
	;; [unrolled: 1-line block ×5, first 2 shown]
	v_fma_f64 v[84:85], -0.5, v[24:25], v[20:21]
	v_add_f64 v[24:25], v[2:3], -v[110:111]
	v_fma_f64 v[104:105], s[14:15], v[24:25], v[84:85]
	v_add_f64 v[26:27], v[58:59], -v[108:109]
	v_add_f64 v[28:29], v[64:65], -v[68:69]
	;; [unrolled: 1-line block ×3, first 2 shown]
	v_fmac_f64_e32 v[84:85], s[2:3], v[24:25]
	v_fmac_f64_e32 v[104:105], s[8:9], v[26:27]
	v_add_f64 v[28:29], v[28:29], v[32:33]
	v_fmac_f64_e32 v[84:85], s[6:7], v[26:27]
	v_fmac_f64_e32 v[104:105], s[4:5], v[28:29]
	;; [unrolled: 1-line block ×3, first 2 shown]
	v_add_f64 v[28:29], v[64:65], v[80:81]
	v_fmac_f64_e32 v[20:21], -0.5, v[28:29]
	v_fma_f64 v[96:97], s[2:3], v[26:27], v[20:21]
	v_fmac_f64_e32 v[20:21], s[14:15], v[26:27]
	v_fmac_f64_e32 v[96:97], s[8:9], v[24:25]
	;; [unrolled: 1-line block ×3, first 2 shown]
	v_add_f64 v[24:25], v[22:23], v[2:3]
	v_add_f64 v[24:25], v[24:25], v[58:59]
	;; [unrolled: 1-line block ×3, first 2 shown]
	v_add_f64 v[28:29], v[68:69], -v[64:65]
	v_add_f64 v[32:33], v[70:71], -v[80:81]
	v_add_f64 v[114:115], v[24:25], v[110:111]
	v_add_f64 v[24:25], v[58:59], v[108:109]
	;; [unrolled: 1-line block ×3, first 2 shown]
	v_fma_f64 v[86:87], -0.5, v[24:25], v[22:23]
	v_add_f64 v[24:25], v[64:65], -v[80:81]
	v_fmac_f64_e32 v[96:97], s[4:5], v[28:29]
	v_fmac_f64_e32 v[20:21], s[4:5], v[28:29]
	v_fma_f64 v[106:107], s[2:3], v[24:25], v[86:87]
	v_add_f64 v[26:27], v[68:69], -v[70:71]
	v_add_f64 v[28:29], v[2:3], -v[58:59]
	;; [unrolled: 1-line block ×3, first 2 shown]
	v_fmac_f64_e32 v[86:87], s[14:15], v[24:25]
	v_fmac_f64_e32 v[106:107], s[6:7], v[26:27]
	v_add_f64 v[28:29], v[28:29], v[32:33]
	v_fmac_f64_e32 v[86:87], s[8:9], v[26:27]
	v_fmac_f64_e32 v[106:107], s[4:5], v[28:29]
	v_fmac_f64_e32 v[86:87], s[4:5], v[28:29]
	v_add_f64 v[28:29], v[2:3], v[110:111]
	v_fmac_f64_e32 v[22:23], -0.5, v[28:29]
	v_fma_f64 v[98:99], s[14:15], v[26:27], v[22:23]
	v_add_f64 v[2:3], v[58:59], -v[2:3]
	v_add_f64 v[28:29], v[108:109], -v[110:111]
	v_fmac_f64_e32 v[22:23], s[2:3], v[26:27]
	v_fmac_f64_e32 v[98:99], s[6:7], v[24:25]
	v_add_f64 v[2:3], v[2:3], v[28:29]
	v_fmac_f64_e32 v[22:23], s[8:9], v[24:25]
	v_fmac_f64_e32 v[98:99], s[4:5], v[2:3]
	;; [unrolled: 1-line block ×3, first 2 shown]
	v_add_f64 v[2:3], v[16:17], v[48:49]
	v_add_f64 v[2:3], v[2:3], v[52:53]
	;; [unrolled: 1-line block ×5, first 2 shown]
	v_fma_f64 v[80:81], -0.5, v[2:3], v[16:17]
	v_add_f64 v[2:3], v[130:131], -v[54:55]
	v_fma_f64 v[100:101], s[14:15], v[2:3], v[80:81]
	v_add_f64 v[24:25], v[42:43], -v[50:51]
	v_add_f64 v[26:27], v[48:49], -v[52:53]
	v_add_f64 v[28:29], v[66:67], -v[56:57]
	v_fmac_f64_e32 v[80:81], s[2:3], v[2:3]
	v_fmac_f64_e32 v[100:101], s[8:9], v[24:25]
	v_add_f64 v[26:27], v[26:27], v[28:29]
	v_fmac_f64_e32 v[80:81], s[6:7], v[24:25]
	v_fmac_f64_e32 v[100:101], s[4:5], v[26:27]
	v_fmac_f64_e32 v[80:81], s[4:5], v[26:27]
	v_add_f64 v[26:27], v[48:49], v[66:67]
	v_fmac_f64_e32 v[16:17], -0.5, v[26:27]
	v_fma_f64 v[92:93], s[2:3], v[24:25], v[16:17]
	v_fmac_f64_e32 v[16:17], s[14:15], v[24:25]
	v_fmac_f64_e32 v[92:93], s[8:9], v[2:3]
	v_fmac_f64_e32 v[16:17], s[6:7], v[2:3]
	v_add_f64 v[2:3], v[18:19], v[130:131]
	v_add_f64 v[2:3], v[2:3], v[42:43]
	v_add_f64 v[2:3], v[2:3], v[50:51]
	v_add_f64 v[26:27], v[52:53], -v[48:49]
	v_add_f64 v[28:29], v[56:57], -v[66:67]
	v_add_f64 v[110:111], v[2:3], v[54:55]
	v_add_f64 v[2:3], v[42:43], v[50:51]
	v_add_f64 v[26:27], v[26:27], v[28:29]
	v_fma_f64 v[82:83], -0.5, v[2:3], v[18:19]
	v_add_f64 v[2:3], v[48:49], -v[66:67]
	v_fmac_f64_e32 v[92:93], s[4:5], v[26:27]
	v_fmac_f64_e32 v[16:17], s[4:5], v[26:27]
	v_fma_f64 v[102:103], s[2:3], v[2:3], v[82:83]
	v_add_f64 v[24:25], v[52:53], -v[56:57]
	v_add_f64 v[26:27], v[130:131], -v[42:43]
	v_add_f64 v[28:29], v[54:55], -v[50:51]
	v_fmac_f64_e32 v[82:83], s[14:15], v[2:3]
	v_fmac_f64_e32 v[102:103], s[6:7], v[24:25]
	v_add_f64 v[26:27], v[26:27], v[28:29]
	v_fmac_f64_e32 v[82:83], s[8:9], v[24:25]
	v_fmac_f64_e32 v[102:103], s[4:5], v[26:27]
	v_fmac_f64_e32 v[82:83], s[4:5], v[26:27]
	v_add_f64 v[26:27], v[130:131], v[54:55]
	v_fmac_f64_e32 v[18:19], -0.5, v[26:27]
	v_fma_f64 v[94:95], s[14:15], v[24:25], v[18:19]
	v_fmac_f64_e32 v[18:19], s[2:3], v[24:25]
	v_fmac_f64_e32 v[94:95], s[6:7], v[2:3]
	v_fmac_f64_e32 v[18:19], s[8:9], v[2:3]
	v_add_f64 v[2:3], v[12:13], v[90:91]
	v_add_f64 v[2:3], v[2:3], v[212:213]
	v_add_f64 v[2:3], v[2:3], v[0:1]
	v_add_f64 v[26:27], v[42:43], -v[130:131]
	v_add_f64 v[28:29], v[50:51], -v[54:55]
	v_add_f64 v[36:37], v[2:3], v[40:41]
	v_add_f64 v[2:3], v[212:213], v[0:1]
	v_add_f64 v[26:27], v[26:27], v[28:29]
	v_fma_f64 v[64:65], -0.5, v[2:3], v[12:13]
	v_add_f64 v[2:3], v[226:227], -v[72:73]
	v_fmac_f64_e32 v[94:95], s[4:5], v[26:27]
	v_fmac_f64_e32 v[18:19], s[4:5], v[26:27]
	;; [unrolled: 28-line block ×3, first 2 shown]
	v_fma_f64 v[54:55], s[2:3], v[2:3], v[66:67]
	v_add_f64 v[0:1], v[212:213], -v[0:1]
	v_add_f64 v[24:25], v[226:227], -v[88:89]
	;; [unrolled: 1-line block ×3, first 2 shown]
	v_fmac_f64_e32 v[66:67], s[14:15], v[2:3]
	v_fmac_f64_e32 v[54:55], s[6:7], v[0:1]
	v_add_f64 v[24:25], v[24:25], v[26:27]
	v_fmac_f64_e32 v[66:67], s[8:9], v[0:1]
	v_fmac_f64_e32 v[54:55], s[4:5], v[24:25]
	;; [unrolled: 1-line block ×3, first 2 shown]
	v_add_f64 v[24:25], v[226:227], v[72:73]
	v_fmac_f64_e32 v[14:15], -0.5, v[24:25]
	v_fma_f64 v[70:71], s[14:15], v[0:1], v[14:15]
	v_fmac_f64_e32 v[14:15], s[2:3], v[0:1]
	v_fmac_f64_e32 v[70:71], s[6:7], v[2:3]
	v_add_f64 v[24:25], v[88:89], -v[226:227]
	v_add_f64 v[26:27], v[76:77], -v[72:73]
	v_fmac_f64_e32 v[14:15], s[8:9], v[2:3]
	v_add_f64 v[2:3], v[220:221], v[224:225]
	v_add_f64 v[24:25], v[24:25], v[26:27]
	v_fma_f64 v[48:49], -0.5, v[2:3], v[8:9]
	v_add_f64 v[2:3], v[78:79], -v[222:223]
	v_fmac_f64_e32 v[70:71], s[4:5], v[24:25]
	v_fmac_f64_e32 v[14:15], s[4:5], v[24:25]
	v_fma_f64 v[60:61], s[14:15], v[2:3], v[48:49]
	v_add_f64 v[24:25], v[214:215], -v[218:219]
	v_add_f64 v[26:27], v[216:217], -v[220:221]
	;; [unrolled: 1-line block ×3, first 2 shown]
	v_fmac_f64_e32 v[48:49], s[2:3], v[2:3]
	v_fmac_f64_e32 v[60:61], s[8:9], v[24:25]
	v_add_f64 v[26:27], v[26:27], v[28:29]
	v_fmac_f64_e32 v[48:49], s[6:7], v[24:25]
	v_fmac_f64_e32 v[60:61], s[4:5], v[26:27]
	;; [unrolled: 1-line block ×3, first 2 shown]
	v_add_f64 v[26:27], v[216:217], v[62:63]
	v_add_f64 v[0:1], v[8:9], v[216:217]
	v_fmac_f64_e32 v[8:9], -0.5, v[26:27]
	v_add_f64 v[0:1], v[0:1], v[220:221]
	v_fma_f64 v[56:57], s[2:3], v[24:25], v[8:9]
	v_add_f64 v[26:27], v[220:221], -v[216:217]
	v_add_f64 v[28:29], v[224:225], -v[62:63]
	v_fmac_f64_e32 v[8:9], s[14:15], v[24:25]
	v_add_f64 v[24:25], v[214:215], v[218:219]
	v_add_f64 v[0:1], v[0:1], v[224:225]
	v_fmac_f64_e32 v[56:57], s[8:9], v[2:3]
	v_add_f64 v[26:27], v[26:27], v[28:29]
	v_fmac_f64_e32 v[8:9], s[6:7], v[2:3]
	v_fma_f64 v[50:51], -0.5, v[24:25], v[10:11]
	v_add_f64 v[24:25], v[216:217], -v[62:63]
	v_add_f64 v[0:1], v[0:1], v[62:63]
	v_fmac_f64_e32 v[56:57], s[4:5], v[26:27]
	v_fmac_f64_e32 v[8:9], s[4:5], v[26:27]
	v_fma_f64 v[62:63], s[2:3], v[24:25], v[50:51]
	v_add_f64 v[26:27], v[220:221], -v[224:225]
	v_add_f64 v[28:29], v[78:79], -v[214:215]
	;; [unrolled: 1-line block ×3, first 2 shown]
	v_fmac_f64_e32 v[50:51], s[14:15], v[24:25]
	v_fmac_f64_e32 v[62:63], s[6:7], v[26:27]
	v_add_f64 v[28:29], v[28:29], v[32:33]
	v_fmac_f64_e32 v[50:51], s[8:9], v[26:27]
	v_fmac_f64_e32 v[62:63], s[4:5], v[28:29]
	;; [unrolled: 1-line block ×3, first 2 shown]
	v_add_f64 v[28:29], v[78:79], v[222:223]
	v_add_f64 v[2:3], v[10:11], v[78:79]
	v_fmac_f64_e32 v[10:11], -0.5, v[28:29]
	v_fma_f64 v[58:59], s[14:15], v[26:27], v[10:11]
	v_fmac_f64_e32 v[10:11], s[2:3], v[26:27]
	v_fmac_f64_e32 v[58:59], s[6:7], v[24:25]
	v_fmac_f64_e32 v[10:11], s[8:9], v[24:25]
	v_add_f64 v[24:25], v[4:5], v[146:147]
	v_add_f64 v[24:25], v[24:25], v[150:151]
	v_add_f64 v[24:25], v[24:25], v[154:155]
	v_add_f64 v[28:29], v[214:215], -v[78:79]
	v_add_f64 v[32:33], v[218:219], -v[222:223]
	v_add_f64 v[76:77], v[24:25], v[46:47]
	v_add_f64 v[24:25], v[150:151], v[154:155]
	v_add_f64 v[28:29], v[28:29], v[32:33]
	v_fma_f64 v[32:33], -0.5, v[24:25], v[4:5]
	v_add_f64 v[24:25], v[134:135], -v[152:153]
	v_fmac_f64_e32 v[58:59], s[4:5], v[28:29]
	v_fmac_f64_e32 v[10:11], s[4:5], v[28:29]
	v_fma_f64 v[44:45], s[14:15], v[24:25], v[32:33]
	v_add_f64 v[26:27], v[136:137], -v[148:149]
	v_add_f64 v[28:29], v[146:147], -v[150:151]
	v_add_f64 v[34:35], v[46:47], -v[154:155]
	v_fmac_f64_e32 v[32:33], s[2:3], v[24:25]
	v_fmac_f64_e32 v[44:45], s[8:9], v[26:27]
	v_add_f64 v[28:29], v[28:29], v[34:35]
	v_fmac_f64_e32 v[32:33], s[6:7], v[26:27]
	v_fmac_f64_e32 v[44:45], s[4:5], v[28:29]
	v_fmac_f64_e32 v[32:33], s[4:5], v[28:29]
	v_add_f64 v[28:29], v[146:147], v[46:47]
	v_fmac_f64_e32 v[4:5], -0.5, v[28:29]
	v_fma_f64 v[40:41], s[2:3], v[26:27], v[4:5]
	v_fmac_f64_e32 v[4:5], s[14:15], v[26:27]
	v_fmac_f64_e32 v[40:41], s[8:9], v[24:25]
	v_fmac_f64_e32 v[4:5], s[6:7], v[24:25]
	v_add_f64 v[24:25], v[6:7], v[134:135]
	v_add_f64 v[24:25], v[24:25], v[136:137]
	v_add_f64 v[24:25], v[24:25], v[148:149]
	v_add_f64 v[28:29], v[150:151], -v[146:147]
	v_add_f64 v[34:35], v[154:155], -v[46:47]
	v_add_f64 v[78:79], v[24:25], v[152:153]
	v_add_f64 v[24:25], v[136:137], v[148:149]
	v_add_f64 v[28:29], v[28:29], v[34:35]
	v_fma_f64 v[34:35], -0.5, v[24:25], v[6:7]
	v_add_f64 v[24:25], v[146:147], -v[46:47]
	v_fmac_f64_e32 v[40:41], s[4:5], v[28:29]
	v_fmac_f64_e32 v[4:5], s[4:5], v[28:29]
	v_fma_f64 v[46:47], s[2:3], v[24:25], v[34:35]
	v_add_f64 v[26:27], v[150:151], -v[154:155]
	v_add_f64 v[28:29], v[134:135], -v[136:137]
	v_add_f64 v[42:43], v[152:153], -v[148:149]
	v_fmac_f64_e32 v[34:35], s[14:15], v[24:25]
	v_fmac_f64_e32 v[46:47], s[6:7], v[26:27]
	v_add_f64 v[28:29], v[28:29], v[42:43]
	v_fmac_f64_e32 v[34:35], s[8:9], v[26:27]
	v_fmac_f64_e32 v[46:47], s[4:5], v[28:29]
	v_fmac_f64_e32 v[34:35], s[4:5], v[28:29]
	;; [unrolled: 28-line block ×3, first 2 shown]
	v_add_f64 v[24:25], v[120:121], v[30:31]
	v_fmac_f64_e32 v[126:127], -0.5, v[24:25]
	v_fma_f64 v[24:25], s[2:3], v[72:73], v[126:127]
	v_fmac_f64_e32 v[126:127], s[14:15], v[72:73]
	v_fmac_f64_e32 v[24:25], s[8:9], v[26:27]
	;; [unrolled: 1-line block ×3, first 2 shown]
	v_add_f64 v[26:27], v[128:129], v[116:117]
	v_add_f64 v[90:91], v[124:125], -v[120:121]
	v_add_f64 v[130:131], v[132:133], -v[30:31]
	v_add_f64 v[26:27], v[26:27], v[118:119]
	v_add_f64 v[90:91], v[90:91], v[130:131]
	;; [unrolled: 1-line block ×3, first 2 shown]
	v_fmac_f64_e32 v[24:25], s[4:5], v[90:91]
	v_fmac_f64_e32 v[126:127], s[4:5], v[90:91]
	v_add_f64 v[90:91], v[26:27], v[74:75]
	v_add_f64 v[26:27], v[118:119], v[122:123]
	v_fma_f64 v[230:231], -0.5, v[26:27], v[128:129]
	v_add_f64 v[72:73], v[120:121], -v[30:31]
	v_fma_f64 v[30:31], s[2:3], v[72:73], v[230:231]
	v_add_f64 v[120:121], v[124:125], -v[132:133]
	v_add_f64 v[26:27], v[116:117], -v[118:119]
	v_add_f64 v[124:125], v[74:75], -v[122:123]
	v_fmac_f64_e32 v[230:231], s[14:15], v[72:73]
	v_fmac_f64_e32 v[30:31], s[6:7], v[120:121]
	v_add_f64 v[26:27], v[26:27], v[124:125]
	v_fmac_f64_e32 v[230:231], s[8:9], v[120:121]
	v_fmac_f64_e32 v[30:31], s[4:5], v[26:27]
	;; [unrolled: 1-line block ×3, first 2 shown]
	v_add_f64 v[26:27], v[116:117], v[74:75]
	v_fmac_f64_e32 v[128:129], -0.5, v[26:27]
	v_fma_f64 v[26:27], s[14:15], v[120:121], v[128:129]
	v_fmac_f64_e32 v[128:129], s[2:3], v[120:121]
	v_fmac_f64_e32 v[26:27], s[6:7], v[72:73]
	;; [unrolled: 1-line block ×3, first 2 shown]
	v_accvgpr_read_b32 v72, a255
	s_barrier
	ds_write_b128 v72, v[112:115]
	ds_write_b128 v72, v[104:107] offset:240
	ds_write_b128 v72, v[96:99] offset:480
	;; [unrolled: 1-line block ×4, first 2 shown]
	v_accvgpr_read_b32 v20, a254
	ds_write_b128 v20, v[108:111]
	ds_write_b128 v20, v[100:103] offset:240
	ds_write_b128 v20, v[92:95] offset:480
	;; [unrolled: 1-line block ×4, first 2 shown]
	buffer_load_dword v16, off, s[28:31], 0 offset:544 ; 4-byte Folded Reload
	s_waitcnt vmcnt(0)
	ds_write_b128 v16, v[36:39]
	ds_write_b128 v16, v[52:55] offset:240
	ds_write_b128 v16, v[68:71] offset:480
	;; [unrolled: 1-line block ×4, first 2 shown]
	buffer_load_dword v12, off, s[28:31], 0 offset:548 ; 4-byte Folded Reload
	v_add_f64 v[2:3], v[2:3], v[214:215]
	v_add_f64 v[2:3], v[2:3], v[218:219]
	;; [unrolled: 1-line block ×3, first 2 shown]
	s_waitcnt vmcnt(0)
	ds_write_b128 v12, v[0:3]
	ds_write_b128 v12, v[60:63] offset:240
	ds_write_b128 v12, v[56:59] offset:480
	;; [unrolled: 1-line block ×4, first 2 shown]
	buffer_load_dword v0, off, s[28:31], 0 offset:552 ; 4-byte Folded Reload
	v_add_f64 v[116:117], v[118:119], -v[116:117]
	v_add_f64 v[74:75], v[122:123], -v[74:75]
	v_add_f64 v[74:75], v[116:117], v[74:75]
	v_fmac_f64_e32 v[26:27], s[4:5], v[74:75]
	v_fmac_f64_e32 v[128:129], s[4:5], v[74:75]
	s_waitcnt vmcnt(0)
	ds_write_b128 v0, v[76:79]
	ds_write_b128 v0, v[44:47] offset:240
	ds_write_b128 v0, v[40:43] offset:480
	;; [unrolled: 1-line block ×4, first 2 shown]
	ds_write_b128 v206, v[88:91]
	ds_write_b128 v206, v[28:31] offset:240
	ds_write_b128 v206, v[24:27] offset:480
	;; [unrolled: 1-line block ×4, first 2 shown]
	v_accvgpr_read_b32 v124, a124
	v_accvgpr_read_b32 v126, a126
	;; [unrolled: 1-line block ×3, first 2 shown]
	s_waitcnt lgkmcnt(0)
	s_barrier
	ds_read_b128 v[40:43], v189
	ds_read_b128 v[116:119], v189 offset:6000
	ds_read_b128 v[112:115], v189 offset:12000
	;; [unrolled: 1-line block ×29, first 2 shown]
	v_accvgpr_read_b32 v125, a125
	s_waitcnt lgkmcnt(14)
	v_mul_f64 v[122:123], v[126:127], v[118:119]
	v_fmac_f64_e32 v[122:123], v[124:125], v[116:117]
	v_mul_f64 v[116:117], v[126:127], v[116:117]
	v_fma_f64 v[124:125], v[124:125], v[118:119], -v[116:117]
	v_accvgpr_read_b32 v116, a120
	v_accvgpr_read_b32 v118, a122
	v_accvgpr_read_b32 v119, a123
	v_accvgpr_read_b32 v117, a121
	v_mul_f64 v[154:155], v[118:119], v[114:115]
	v_fmac_f64_e32 v[154:155], v[116:117], v[112:113]
	v_mul_f64 v[112:113], v[118:119], v[112:113]
	v_fma_f64 v[212:213], v[116:117], v[114:115], -v[112:113]
	v_accvgpr_read_b32 v112, a116
	v_accvgpr_read_b32 v114, a118
	v_accvgpr_read_b32 v115, a119
	v_accvgpr_read_b32 v113, a117
	v_mul_f64 v[136:137], v[114:115], v[110:111]
	v_fmac_f64_e32 v[136:137], v[112:113], v[108:109]
	v_mul_f64 v[108:109], v[114:115], v[108:109]
	v_fma_f64 v[126:127], v[112:113], v[110:111], -v[108:109]
	v_accvgpr_read_b32 v108, a112
	v_accvgpr_read_b32 v110, a114
	v_accvgpr_read_b32 v111, a115
	v_accvgpr_read_b32 v109, a113
	v_mul_f64 v[216:217], v[110:111], v[106:107]
	v_fmac_f64_e32 v[216:217], v[108:109], v[104:105]
	v_mul_f64 v[104:105], v[110:111], v[104:105]
	v_fma_f64 v[128:129], v[108:109], v[106:107], -v[104:105]
	v_accvgpr_read_b32 v107, a87
	v_accvgpr_read_b32 v106, a86
	v_accvgpr_read_b32 v105, a85
	v_accvgpr_read_b32 v104, a84
	v_mul_f64 v[148:149], v[106:107], v[102:103]
	v_fmac_f64_e32 v[148:149], v[104:105], v[100:101]
	v_mul_f64 v[100:101], v[106:107], v[100:101]
	v_fma_f64 v[132:133], v[104:105], v[102:103], -v[100:101]
	v_accvgpr_read_b32 v103, a75
	v_accvgpr_read_b32 v102, a74
	v_accvgpr_read_b32 v101, a73
	v_accvgpr_read_b32 v100, a72
	v_mul_f64 v[218:219], v[102:103], v[98:99]
	v_fmac_f64_e32 v[218:219], v[100:101], v[96:97]
	v_mul_f64 v[96:97], v[102:103], v[96:97]
	v_fma_f64 v[130:131], v[100:101], v[98:99], -v[96:97]
	v_accvgpr_read_b32 v99, a51
	v_accvgpr_read_b32 v98, a50
	v_accvgpr_read_b32 v97, a49
	v_accvgpr_read_b32 v96, a48
	v_mul_f64 v[150:151], v[98:99], v[94:95]
	v_fmac_f64_e32 v[150:151], v[96:97], v[92:93]
	v_mul_f64 v[92:93], v[98:99], v[92:93]
	v_fma_f64 v[134:135], v[96:97], v[94:95], -v[92:93]
	v_accvgpr_read_b32 v95, a39
	v_accvgpr_read_b32 v94, a38
	v_accvgpr_read_b32 v93, a37
	v_accvgpr_read_b32 v92, a36
	v_mul_f64 v[220:221], v[94:95], v[90:91]
	v_fmac_f64_e32 v[220:221], v[92:93], v[88:89]
	v_mul_f64 v[88:89], v[94:95], v[88:89]
	v_fma_f64 v[214:215], v[92:93], v[90:91], -v[88:89]
	v_accvgpr_read_b32 v91, a59
	v_accvgpr_read_b32 v90, a58
	v_accvgpr_read_b32 v89, a57
	v_accvgpr_read_b32 v88, a56
	v_mul_f64 v[152:153], v[90:91], v[86:87]
	v_fmac_f64_e32 v[152:153], v[88:89], v[84:85]
	v_mul_f64 v[84:85], v[90:91], v[84:85]
	v_fma_f64 v[146:147], v[88:89], v[86:87], -v[84:85]
	v_accvgpr_read_b32 v87, a19
	v_accvgpr_read_b32 v86, a18
	v_accvgpr_read_b32 v85, a17
	v_accvgpr_read_b32 v84, a16
	v_mul_f64 v[120:121], v[86:87], v[82:83]
	v_fmac_f64_e32 v[120:121], v[84:85], v[80:81]
	v_mul_f64 v[80:81], v[86:87], v[80:81]
	v_fma_f64 v[80:81], v[84:85], v[82:83], -v[80:81]
	v_accvgpr_read_b32 v87, a23
	v_accvgpr_read_b32 v86, a22
	v_accvgpr_read_b32 v85, a21
	v_accvgpr_read_b32 v84, a20
	v_mul_f64 v[82:83], v[86:87], v[78:79]
	v_fmac_f64_e32 v[82:83], v[84:85], v[76:77]
	v_mul_f64 v[76:77], v[86:87], v[76:77]
	v_fma_f64 v[78:79], v[84:85], v[78:79], -v[76:77]
	v_accvgpr_read_b32 v87, a35
	v_accvgpr_read_b32 v86, a34
	v_accvgpr_read_b32 v85, a33
	v_accvgpr_read_b32 v84, a32
	v_mul_f64 v[76:77], v[86:87], v[74:75]
	v_fmac_f64_e32 v[76:77], v[84:85], v[72:73]
	v_mul_f64 v[72:73], v[86:87], v[72:73]
	v_fma_f64 v[72:73], v[84:85], v[74:75], -v[72:73]
	v_accvgpr_read_b32 v87, a55
	v_accvgpr_read_b32 v86, a54
	v_accvgpr_read_b32 v85, a53
	v_accvgpr_read_b32 v84, a52
	v_mul_f64 v[74:75], v[86:87], v[70:71]
	v_fmac_f64_e32 v[74:75], v[84:85], v[68:69]
	v_mul_f64 v[68:69], v[86:87], v[68:69]
	v_fma_f64 v[70:71], v[84:85], v[70:71], -v[68:69]
	v_accvgpr_read_b32 v87, a47
	v_accvgpr_read_b32 v86, a46
	v_accvgpr_read_b32 v85, a45
	v_accvgpr_read_b32 v84, a44
	v_mul_f64 v[68:69], v[86:87], v[66:67]
	v_fmac_f64_e32 v[68:69], v[84:85], v[64:65]
	v_mul_f64 v[64:65], v[86:87], v[64:65]
	v_fma_f64 v[64:65], v[84:85], v[66:67], -v[64:65]
	v_accvgpr_read_b32 v87, a83
	v_accvgpr_read_b32 v86, a82
	v_accvgpr_read_b32 v85, a81
	v_accvgpr_read_b32 v84, a80
	s_waitcnt lgkmcnt(13)
	v_mul_f64 v[66:67], v[86:87], v[62:63]
	v_fmac_f64_e32 v[66:67], v[84:85], v[60:61]
	v_mul_f64 v[60:61], v[86:87], v[60:61]
	v_fma_f64 v[62:63], v[84:85], v[62:63], -v[60:61]
	v_accvgpr_read_b32 v84, a92
	v_accvgpr_read_b32 v86, a94
	v_accvgpr_read_b32 v87, a95
	v_accvgpr_read_b32 v85, a93
	s_waitcnt lgkmcnt(12)
	v_mul_f64 v[60:61], v[86:87], v[58:59]
	v_fmac_f64_e32 v[60:61], v[84:85], v[56:57]
	v_mul_f64 v[56:57], v[86:87], v[56:57]
	v_fma_f64 v[56:57], v[84:85], v[58:59], -v[56:57]
	v_accvgpr_read_b32 v84, a100
	v_accvgpr_read_b32 v86, a102
	v_accvgpr_read_b32 v87, a103
	v_accvgpr_read_b32 v85, a101
	;; [unrolled: 9-line block ×12, first 2 shown]
	s_waitcnt lgkmcnt(0)
	v_mul_f64 v[100:101], v[14:15], v[10:11]
	v_fmac_f64_e32 v[100:101], v[12:13], v[8:9]
	v_mul_f64 v[8:9], v[14:15], v[8:9]
	v_fma_f64 v[90:91], v[12:13], v[10:11], -v[8:9]
	v_add_f64 v[8:9], v[40:41], v[154:155]
	v_add_f64 v[8:9], v[8:9], v[216:217]
	;; [unrolled: 1-line block ×5, first 2 shown]
	v_fma_f64 v[30:31], -0.5, v[8:9], v[40:41]
	v_add_f64 v[8:9], v[212:213], -v[214:215]
	v_fma_f64 v[32:33], s[14:15], v[8:9], v[30:31]
	v_add_f64 v[10:11], v[128:129], -v[130:131]
	v_add_f64 v[12:13], v[154:155], -v[216:217]
	v_add_f64 v[14:15], v[220:221], -v[218:219]
	v_fmac_f64_e32 v[30:31], s[2:3], v[8:9]
	v_fmac_f64_e32 v[32:33], s[8:9], v[10:11]
	v_add_f64 v[12:13], v[12:13], v[14:15]
	v_fmac_f64_e32 v[30:31], s[6:7], v[10:11]
	v_fmac_f64_e32 v[32:33], s[4:5], v[12:13]
	v_fmac_f64_e32 v[30:31], s[4:5], v[12:13]
	v_add_f64 v[12:13], v[154:155], v[220:221]
	v_fmac_f64_e32 v[40:41], -0.5, v[12:13]
	v_fma_f64 v[38:39], s[2:3], v[10:11], v[40:41]
	v_fmac_f64_e32 v[40:41], s[14:15], v[10:11]
	v_fmac_f64_e32 v[38:39], s[8:9], v[8:9]
	v_fmac_f64_e32 v[40:41], s[6:7], v[8:9]
	v_add_f64 v[8:9], v[42:43], v[212:213]
	v_add_f64 v[8:9], v[8:9], v[128:129]
	v_add_f64 v[8:9], v[8:9], v[130:131]
	v_add_f64 v[12:13], v[216:217], -v[154:155]
	v_add_f64 v[14:15], v[218:219], -v[220:221]
	v_add_f64 v[34:35], v[8:9], v[214:215]
	v_add_f64 v[8:9], v[128:129], v[130:131]
	v_add_f64 v[12:13], v[12:13], v[14:15]
	v_fma_f64 v[50:51], -0.5, v[8:9], v[42:43]
	v_add_f64 v[8:9], v[154:155], -v[220:221]
	v_fmac_f64_e32 v[38:39], s[4:5], v[12:13]
	v_fmac_f64_e32 v[40:41], s[4:5], v[12:13]
	v_fma_f64 v[46:47], s[2:3], v[8:9], v[50:51]
	v_add_f64 v[10:11], v[216:217], -v[218:219]
	v_add_f64 v[12:13], v[212:213], -v[128:129]
	v_add_f64 v[14:15], v[214:215], -v[130:131]
	v_fmac_f64_e32 v[50:51], s[14:15], v[8:9]
	v_fmac_f64_e32 v[46:47], s[6:7], v[10:11]
	v_add_f64 v[12:13], v[12:13], v[14:15]
	v_fmac_f64_e32 v[50:51], s[8:9], v[10:11]
	v_fmac_f64_e32 v[46:47], s[4:5], v[12:13]
	v_fmac_f64_e32 v[50:51], s[4:5], v[12:13]
	v_add_f64 v[12:13], v[212:213], v[214:215]
	v_fmac_f64_e32 v[42:43], -0.5, v[12:13]
	v_fma_f64 v[154:155], s[14:15], v[10:11], v[42:43]
	v_fmac_f64_e32 v[42:43], s[2:3], v[10:11]
	v_fmac_f64_e32 v[154:155], s[6:7], v[8:9]
	v_fmac_f64_e32 v[42:43], s[8:9], v[8:9]
	v_add_f64 v[8:9], v[122:123], v[136:137]
	v_add_f64 v[8:9], v[8:9], v[148:149]
	v_add_f64 v[8:9], v[8:9], v[150:151]
	v_add_f64 v[12:13], v[128:129], -v[212:213]
	v_add_f64 v[14:15], v[130:131], -v[214:215]
	v_add_f64 v[36:37], v[8:9], v[152:153]
	v_add_f64 v[8:9], v[148:149], v[150:151]
	v_add_f64 v[12:13], v[12:13], v[14:15]
	v_fma_f64 v[22:23], -0.5, v[8:9], v[122:123]
	v_add_f64 v[8:9], v[126:127], -v[146:147]
	v_fmac_f64_e32 v[154:155], s[4:5], v[12:13]
	v_fmac_f64_e32 v[42:43], s[4:5], v[12:13]
	;; [unrolled: 28-line block ×3, first 2 shown]
	v_fma_f64 v[14:15], s[2:3], v[8:9], v[44:45]
	v_add_f64 v[12:13], v[148:149], -v[150:151]
	v_add_f64 v[16:17], v[126:127], -v[132:133]
	;; [unrolled: 1-line block ×3, first 2 shown]
	v_fmac_f64_e32 v[44:45], s[14:15], v[8:9]
	v_fmac_f64_e32 v[14:15], s[6:7], v[12:13]
	v_add_f64 v[16:17], v[16:17], v[18:19]
	v_fmac_f64_e32 v[44:45], s[8:9], v[12:13]
	v_fmac_f64_e32 v[14:15], s[4:5], v[16:17]
	;; [unrolled: 1-line block ×3, first 2 shown]
	v_add_f64 v[16:17], v[126:127], v[146:147]
	v_fmac_f64_e32 v[124:125], -0.5, v[16:17]
	v_fma_f64 v[130:131], s[14:15], v[12:13], v[124:125]
	v_add_f64 v[16:17], v[132:133], -v[126:127]
	v_add_f64 v[18:19], v[134:135], -v[146:147]
	v_fmac_f64_e32 v[124:125], s[2:3], v[12:13]
	v_add_f64 v[16:17], v[16:17], v[18:19]
	v_fmac_f64_e32 v[124:125], s[8:9], v[8:9]
	v_fmac_f64_e32 v[130:131], s[6:7], v[8:9]
	;; [unrolled: 1-line block ×4, first 2 shown]
	v_mul_f64 v[134:135], v[124:125], s[14:15]
	v_mul_f64 v[124:125], v[124:125], s[22:23]
	;; [unrolled: 1-line block ×3, first 2 shown]
	v_fmac_f64_e32 v[134:135], s[22:23], v[122:123]
	v_mul_f64 v[146:147], v[14:15], s[24:25]
	v_fmac_f64_e32 v[124:125], s[2:3], v[122:123]
	v_mul_f64 v[122:123], v[44:45], s[20:21]
	;; [unrolled: 2-line block ×4, first 2 shown]
	v_fmac_f64_e32 v[122:123], s[6:7], v[22:23]
	v_add_f64 v[16:17], v[28:29], v[36:37]
	v_mul_f64 v[126:127], v[14:15], s[8:9]
	v_add_f64 v[8:9], v[38:39], v[132:133]
	v_fmac_f64_e32 v[136:137], s[20:21], v[22:23]
	v_add_f64 v[18:19], v[34:35], v[128:129]
	v_add_f64 v[14:15], v[46:47], v[146:147]
	v_fmac_f64_e32 v[130:131], s[2:3], v[26:27]
	v_add_f64 v[26:27], v[42:43], v[124:125]
	v_add_f64 v[22:23], v[50:51], v[122:123]
	v_add_f64 v[36:37], v[28:29], -v[36:37]
	v_add_f64 v[28:29], v[38:39], -v[132:133]
	;; [unrolled: 1-line block ×6, first 2 shown]
	v_add_f64 v[50:51], v[4:5], v[82:83]
	v_add_f64 v[50:51], v[50:51], v[74:75]
	;; [unrolled: 1-line block ×5, first 2 shown]
	v_fmac_f64_e32 v[126:127], s[24:25], v[10:11]
	v_fma_f64 v[122:123], -0.5, v[50:51], v[4:5]
	v_add_f64 v[50:51], v[78:79], -v[54:55]
	v_add_f64 v[12:13], v[32:33], v[126:127]
	v_add_f64 v[24:25], v[40:41], v[134:135]
	;; [unrolled: 1-line block ×4, first 2 shown]
	v_add_f64 v[32:33], v[32:33], -v[126:127]
	v_add_f64 v[44:45], v[40:41], -v[134:135]
	;; [unrolled: 1-line block ×4, first 2 shown]
	v_fma_f64 v[126:127], s[14:15], v[50:51], v[122:123]
	v_add_f64 v[128:129], v[70:71], -v[62:63]
	v_add_f64 v[130:131], v[82:83], -v[74:75]
	;; [unrolled: 1-line block ×3, first 2 shown]
	v_fmac_f64_e32 v[122:123], s[2:3], v[50:51]
	v_fmac_f64_e32 v[126:127], s[8:9], v[128:129]
	v_add_f64 v[130:131], v[130:131], v[132:133]
	v_fmac_f64_e32 v[122:123], s[6:7], v[128:129]
	v_fmac_f64_e32 v[126:127], s[4:5], v[130:131]
	;; [unrolled: 1-line block ×3, first 2 shown]
	v_add_f64 v[130:131], v[82:83], v[58:59]
	v_fmac_f64_e32 v[4:5], -0.5, v[130:131]
	v_fma_f64 v[136:137], s[2:3], v[128:129], v[4:5]
	v_fmac_f64_e32 v[4:5], s[14:15], v[128:129]
	v_fmac_f64_e32 v[136:137], s[8:9], v[50:51]
	;; [unrolled: 1-line block ×3, first 2 shown]
	v_add_f64 v[50:51], v[6:7], v[78:79]
	v_add_f64 v[50:51], v[50:51], v[70:71]
	v_add_f64 v[130:131], v[74:75], -v[82:83]
	v_add_f64 v[132:133], v[66:67], -v[58:59]
	v_add_f64 v[50:51], v[50:51], v[62:63]
	v_add_f64 v[130:131], v[130:131], v[132:133]
	;; [unrolled: 1-line block ×4, first 2 shown]
	v_fma_f64 v[134:135], -0.5, v[50:51], v[6:7]
	v_add_f64 v[50:51], v[82:83], -v[58:59]
	v_fma_f64 v[82:83], s[2:3], v[50:51], v[134:135]
	v_add_f64 v[58:59], v[74:75], -v[66:67]
	v_add_f64 v[66:67], v[78:79], -v[70:71]
	;; [unrolled: 1-line block ×3, first 2 shown]
	v_fmac_f64_e32 v[134:135], s[14:15], v[50:51]
	v_fmac_f64_e32 v[82:83], s[6:7], v[58:59]
	v_add_f64 v[66:67], v[66:67], v[74:75]
	v_fmac_f64_e32 v[134:135], s[8:9], v[58:59]
	v_fmac_f64_e32 v[82:83], s[4:5], v[66:67]
	;; [unrolled: 1-line block ×3, first 2 shown]
	v_add_f64 v[66:67], v[78:79], v[54:55]
	v_fmac_f64_e32 v[6:7], -0.5, v[66:67]
	v_fma_f64 v[146:147], s[14:15], v[58:59], v[6:7]
	v_fmac_f64_e32 v[6:7], s[2:3], v[58:59]
	v_fmac_f64_e32 v[146:147], s[6:7], v[50:51]
	;; [unrolled: 1-line block ×3, first 2 shown]
	v_add_f64 v[50:51], v[120:121], v[76:77]
	v_add_f64 v[50:51], v[50:51], v[68:69]
	v_add_f64 v[50:51], v[50:51], v[60:61]
	v_add_f64 v[66:67], v[70:71], -v[78:79]
	v_add_f64 v[54:55], v[62:63], -v[54:55]
	v_add_f64 v[70:71], v[50:51], v[52:53]
	v_add_f64 v[50:51], v[68:69], v[60:61]
	;; [unrolled: 1-line block ×3, first 2 shown]
	v_fma_f64 v[62:63], -0.5, v[50:51], v[120:121]
	v_add_f64 v[50:51], v[72:73], -v[48:49]
	v_fmac_f64_e32 v[146:147], s[4:5], v[54:55]
	v_fmac_f64_e32 v[6:7], s[4:5], v[54:55]
	v_fma_f64 v[54:55], s[14:15], v[50:51], v[62:63]
	v_add_f64 v[58:59], v[64:65], -v[56:57]
	v_add_f64 v[66:67], v[76:77], -v[68:69]
	;; [unrolled: 1-line block ×3, first 2 shown]
	v_fmac_f64_e32 v[62:63], s[2:3], v[50:51]
	v_fmac_f64_e32 v[54:55], s[8:9], v[58:59]
	v_add_f64 v[66:67], v[66:67], v[74:75]
	v_fmac_f64_e32 v[62:63], s[6:7], v[58:59]
	v_fmac_f64_e32 v[54:55], s[4:5], v[66:67]
	;; [unrolled: 1-line block ×3, first 2 shown]
	v_add_f64 v[66:67], v[76:77], v[52:53]
	v_fmac_f64_e32 v[120:121], -0.5, v[66:67]
	v_fma_f64 v[66:67], s[2:3], v[58:59], v[120:121]
	v_fmac_f64_e32 v[120:121], s[14:15], v[58:59]
	v_fmac_f64_e32 v[66:67], s[8:9], v[50:51]
	;; [unrolled: 1-line block ×3, first 2 shown]
	v_add_f64 v[50:51], v[80:81], v[72:73]
	v_add_f64 v[74:75], v[68:69], -v[76:77]
	v_add_f64 v[78:79], v[60:61], -v[52:53]
	v_add_f64 v[50:51], v[50:51], v[64:65]
	v_add_f64 v[74:75], v[74:75], v[78:79]
	;; [unrolled: 1-line block ×3, first 2 shown]
	v_fmac_f64_e32 v[66:67], s[4:5], v[74:75]
	v_fmac_f64_e32 v[120:121], s[4:5], v[74:75]
	v_add_f64 v[74:75], v[50:51], v[48:49]
	v_add_f64 v[50:51], v[64:65], v[56:57]
	v_fma_f64 v[78:79], -0.5, v[50:51], v[80:81]
	v_add_f64 v[50:51], v[76:77], -v[52:53]
	v_fma_f64 v[76:77], s[2:3], v[50:51], v[78:79]
	v_add_f64 v[52:53], v[68:69], -v[60:61]
	v_add_f64 v[58:59], v[72:73], -v[64:65]
	v_add_f64 v[60:61], v[48:49], -v[56:57]
	v_fmac_f64_e32 v[78:79], s[14:15], v[50:51]
	v_fmac_f64_e32 v[76:77], s[6:7], v[52:53]
	v_add_f64 v[58:59], v[58:59], v[60:61]
	v_fmac_f64_e32 v[78:79], s[8:9], v[52:53]
	v_fmac_f64_e32 v[76:77], s[4:5], v[58:59]
	;; [unrolled: 1-line block ×3, first 2 shown]
	v_add_f64 v[58:59], v[72:73], v[48:49]
	v_fmac_f64_e32 v[80:81], -0.5, v[58:59]
	v_fma_f64 v[68:69], s[14:15], v[52:53], v[80:81]
	v_add_f64 v[58:59], v[64:65], -v[72:73]
	v_add_f64 v[48:49], v[56:57], -v[48:49]
	v_fmac_f64_e32 v[80:81], s[2:3], v[52:53]
	v_add_f64 v[48:49], v[58:59], v[48:49]
	v_fmac_f64_e32 v[80:81], s[8:9], v[50:51]
	v_fmac_f64_e32 v[80:81], s[4:5], v[48:49]
	v_fmac_f64_e32 v[136:137], s[4:5], v[130:131]
	v_fmac_f64_e32 v[4:5], s[4:5], v[130:131]
	v_fmac_f64_e32 v[68:69], s[6:7], v[50:51]
	v_mul_f64 v[130:131], v[80:81], s[14:15]
	v_mul_f64 v[154:155], v[80:81], s[22:23]
	v_fmac_f64_e32 v[68:69], s[4:5], v[48:49]
	v_fmac_f64_e32 v[130:131], s[22:23], v[120:121]
	v_mul_f64 v[150:151], v[76:77], s[24:25]
	v_fmac_f64_e32 v[154:155], s[2:3], v[120:121]
	v_mul_f64 v[120:121], v[78:79], s[20:21]
	v_mul_f64 v[72:73], v[76:77], s[8:9]
	;; [unrolled: 1-line block ×4, first 2 shown]
	v_fmac_f64_e32 v[150:151], s[6:7], v[54:55]
	v_mul_f64 v[152:153], v[68:69], s[4:5]
	v_fmac_f64_e32 v[120:121], s[6:7], v[62:63]
	v_fmac_f64_e32 v[72:73], s[24:25], v[54:55]
	;; [unrolled: 1-line block ×4, first 2 shown]
	v_add_f64 v[58:59], v[132:133], v[74:75]
	v_add_f64 v[54:55], v[82:83], v[150:151]
	v_fmac_f64_e32 v[152:153], s[2:3], v[66:67]
	v_add_f64 v[66:67], v[6:7], v[154:155]
	v_add_f64 v[62:63], v[134:135], v[120:121]
	v_add_f64 v[78:79], v[132:133], -v[74:75]
	v_add_f64 v[74:75], v[82:83], -v[150:151]
	;; [unrolled: 1-line block ×4, first 2 shown]
	v_add_f64 v[120:121], v[0:1], v[112:113]
	v_add_f64 v[120:121], v[120:121], v[114:115]
	;; [unrolled: 1-line block ×5, first 2 shown]
	v_add_f64 v[80:81], v[4:5], -v[130:131]
	v_add_f64 v[4:5], v[122:123], -v[148:149]
	v_add_f64 v[122:123], v[120:121], v[118:119]
	v_add_f64 v[120:121], v[114:115], v[116:117]
	;; [unrolled: 1-line block ×3, first 2 shown]
	v_add_f64 v[72:73], v[126:127], -v[72:73]
	v_fma_f64 v[120:121], -0.5, v[120:121], v[0:1]
	v_add_f64 v[126:127], v[104:105], -v[110:111]
	v_add_f64 v[56:57], v[124:125], v[70:71]
	v_add_f64 v[48:49], v[136:137], v[128:129]
	v_add_f64 v[76:77], v[124:125], -v[70:71]
	v_add_f64 v[68:69], v[136:137], -v[128:129]
	v_fma_f64 v[124:125], s[14:15], v[126:127], v[120:121]
	v_add_f64 v[128:129], v[106:107], -v[108:109]
	v_add_f64 v[130:131], v[112:113], -v[114:115]
	;; [unrolled: 1-line block ×3, first 2 shown]
	v_fmac_f64_e32 v[120:121], s[2:3], v[126:127]
	v_fmac_f64_e32 v[124:125], s[8:9], v[128:129]
	v_add_f64 v[130:131], v[130:131], v[132:133]
	v_fmac_f64_e32 v[120:121], s[6:7], v[128:129]
	v_fmac_f64_e32 v[124:125], s[4:5], v[130:131]
	;; [unrolled: 1-line block ×3, first 2 shown]
	v_add_f64 v[130:131], v[112:113], v[118:119]
	v_fmac_f64_e32 v[0:1], -0.5, v[130:131]
	v_fma_f64 v[134:135], s[2:3], v[128:129], v[0:1]
	v_add_f64 v[130:131], v[114:115], -v[112:113]
	v_add_f64 v[132:133], v[116:117], -v[118:119]
	v_fmac_f64_e32 v[0:1], s[14:15], v[128:129]
	v_add_f64 v[128:129], v[106:107], v[108:109]
	v_add_f64 v[130:131], v[130:131], v[132:133]
	v_fma_f64 v[132:133], -0.5, v[128:129], v[2:3]
	v_add_f64 v[112:113], v[112:113], -v[118:119]
	v_fma_f64 v[118:119], s[2:3], v[112:113], v[132:133]
	v_add_f64 v[114:115], v[114:115], -v[116:117]
	v_add_f64 v[116:117], v[104:105], -v[106:107]
	;; [unrolled: 1-line block ×3, first 2 shown]
	v_fmac_f64_e32 v[132:133], s[14:15], v[112:113]
	v_fmac_f64_e32 v[134:135], s[8:9], v[126:127]
	;; [unrolled: 1-line block ×3, first 2 shown]
	v_add_f64 v[126:127], v[2:3], v[104:105]
	v_fmac_f64_e32 v[118:119], s[6:7], v[114:115]
	v_add_f64 v[116:117], v[116:117], v[128:129]
	v_fmac_f64_e32 v[132:133], s[8:9], v[114:115]
	;; [unrolled: 2-line block ×3, first 2 shown]
	v_fmac_f64_e32 v[132:133], s[4:5], v[116:117]
	v_add_f64 v[116:117], v[104:105], v[110:111]
	v_add_f64 v[104:105], v[106:107], -v[104:105]
	v_add_f64 v[106:107], v[108:109], -v[110:111]
	v_fmac_f64_e32 v[2:3], -0.5, v[116:117]
	v_add_f64 v[104:105], v[104:105], v[106:107]
	v_add_f64 v[106:107], v[94:95], v[96:97]
	;; [unrolled: 1-line block ×3, first 2 shown]
	v_fma_f64 v[136:137], s[14:15], v[114:115], v[2:3]
	v_fmac_f64_e32 v[2:3], s[2:3], v[114:115]
	v_fma_f64 v[106:107], -0.5, v[106:107], v[98:99]
	v_add_f64 v[108:109], v[84:85], -v[90:91]
	v_add_f64 v[126:127], v[126:127], v[110:111]
	v_fmac_f64_e32 v[136:137], s[6:7], v[112:113]
	v_fmac_f64_e32 v[2:3], s[8:9], v[112:113]
	v_fma_f64 v[110:111], s[14:15], v[108:109], v[106:107]
	v_add_f64 v[112:113], v[86:87], -v[88:89]
	v_add_f64 v[114:115], v[92:93], -v[94:95]
	;; [unrolled: 1-line block ×3, first 2 shown]
	v_fmac_f64_e32 v[106:107], s[2:3], v[108:109]
	v_fmac_f64_e32 v[110:111], s[8:9], v[112:113]
	v_add_f64 v[114:115], v[114:115], v[116:117]
	v_fmac_f64_e32 v[106:107], s[6:7], v[112:113]
	v_fmac_f64_e32 v[110:111], s[4:5], v[114:115]
	;; [unrolled: 1-line block ×3, first 2 shown]
	v_add_f64 v[114:115], v[92:93], v[100:101]
	v_fmac_f64_e32 v[136:137], s[4:5], v[104:105]
	v_fmac_f64_e32 v[2:3], s[4:5], v[104:105]
	v_add_f64 v[104:105], v[98:99], v[92:93]
	v_fmac_f64_e32 v[98:99], -0.5, v[114:115]
	v_fma_f64 v[114:115], s[2:3], v[112:113], v[98:99]
	v_fmac_f64_e32 v[98:99], s[14:15], v[112:113]
	v_fmac_f64_e32 v[114:115], s[8:9], v[108:109]
	;; [unrolled: 1-line block ×3, first 2 shown]
	v_add_f64 v[108:109], v[102:103], v[84:85]
	v_add_f64 v[108:109], v[108:109], v[86:87]
	v_add_f64 v[116:117], v[94:95], -v[92:93]
	v_add_f64 v[128:129], v[96:97], -v[100:101]
	v_add_f64 v[108:109], v[108:109], v[88:89]
	v_add_f64 v[104:105], v[104:105], v[94:95]
	;; [unrolled: 1-line block ×6, first 2 shown]
	v_fma_f64 v[108:109], -0.5, v[108:109], v[102:103]
	v_add_f64 v[92:93], v[92:93], -v[100:101]
	v_add_f64 v[104:105], v[104:105], v[100:101]
	v_fma_f64 v[112:113], s[2:3], v[92:93], v[108:109]
	v_add_f64 v[94:95], v[94:95], -v[96:97]
	v_add_f64 v[96:97], v[84:85], -v[86:87]
	;; [unrolled: 1-line block ×3, first 2 shown]
	v_fmac_f64_e32 v[108:109], s[14:15], v[92:93]
	v_fmac_f64_e32 v[112:113], s[6:7], v[94:95]
	v_add_f64 v[96:97], v[96:97], v[100:101]
	v_fmac_f64_e32 v[108:109], s[8:9], v[94:95]
	v_fmac_f64_e32 v[112:113], s[4:5], v[96:97]
	;; [unrolled: 1-line block ×3, first 2 shown]
	v_add_f64 v[96:97], v[84:85], v[90:91]
	v_fmac_f64_e32 v[102:103], -0.5, v[96:97]
	v_fmac_f64_e32 v[114:115], s[4:5], v[116:117]
	v_fmac_f64_e32 v[98:99], s[4:5], v[116:117]
	v_fma_f64 v[116:117], s[14:15], v[94:95], v[102:103]
	v_add_f64 v[84:85], v[86:87], -v[84:85]
	v_add_f64 v[86:87], v[88:89], -v[90:91]
	v_fmac_f64_e32 v[102:103], s[2:3], v[94:95]
	v_add_f64 v[84:85], v[84:85], v[86:87]
	v_fmac_f64_e32 v[102:103], s[8:9], v[92:93]
	v_fmac_f64_e32 v[116:117], s[6:7], v[92:93]
	;; [unrolled: 1-line block ×4, first 2 shown]
	v_mul_f64 v[148:149], v[102:103], s[14:15]
	v_mul_f64 v[150:151], v[108:109], s[8:9]
	v_add_f64 v[50:51], v[146:147], v[152:153]
	v_add_f64 v[70:71], v[146:147], -v[152:153]
	v_fmac_f64_e32 v[134:135], s[4:5], v[130:131]
	v_fmac_f64_e32 v[0:1], s[4:5], v[130:131]
	v_mul_f64 v[130:131], v[112:113], s[8:9]
	v_mul_f64 v[146:147], v[116:117], s[14:15]
	v_fmac_f64_e32 v[148:149], s[22:23], v[98:99]
	v_fmac_f64_e32 v[150:151], s[20:21], v[106:107]
	v_mul_f64 v[152:153], v[112:113], s[24:25]
	v_mul_f64 v[154:155], v[116:117], s[4:5]
	;; [unrolled: 1-line block ×4, first 2 shown]
	v_add_f64 v[92:93], v[122:123], v[104:105]
	v_fmac_f64_e32 v[130:131], s[24:25], v[110:111]
	v_fmac_f64_e32 v[146:147], s[4:5], v[114:115]
	v_add_f64 v[100:101], v[0:1], v[148:149]
	v_add_f64 v[96:97], v[120:121], v[150:151]
	v_fmac_f64_e32 v[152:153], s[6:7], v[110:111]
	v_fmac_f64_e32 v[154:155], s[2:3], v[114:115]
	;; [unrolled: 1-line block ×4, first 2 shown]
	v_add_f64 v[112:113], v[122:123], -v[104:105]
	v_add_f64 v[116:117], v[0:1], -v[148:149]
	;; [unrolled: 1-line block ×3, first 2 shown]
	v_accvgpr_read_b32 v123, a15
	v_add_f64 v[88:89], v[124:125], v[130:131]
	v_add_f64 v[84:85], v[134:135], v[146:147]
	;; [unrolled: 1-line block ×7, first 2 shown]
	v_add_f64 v[108:109], v[124:125], -v[130:131]
	v_add_f64 v[104:105], v[134:135], -v[146:147]
	;; [unrolled: 1-line block ×7, first 2 shown]
	v_accvgpr_read_b32 v122, a14
	s_barrier
	ds_write_b128 v186, v[16:19]
	ds_write_b128 v186, v[12:15] offset:1200
	ds_write_b128 v186, v[8:11] offset:2400
	ds_write_b128 v186, v[24:27] offset:3600
	ds_write_b128 v186, v[20:23] offset:4800
	ds_write_b128 v186, v[36:39] offset:6000
	ds_write_b128 v186, v[32:35] offset:7200
	ds_write_b128 v186, v[28:31] offset:8400
	ds_write_b128 v186, v[44:47] offset:9600
	ds_write_b128 v186, v[40:43] offset:10800
	ds_write_b128 v157, v[56:59]
	ds_write_b128 v157, v[52:55] offset:1200
	ds_write_b128 v157, v[48:51] offset:2400
	ds_write_b128 v157, v[64:67] offset:3600
	ds_write_b128 v157, v[60:63] offset:4800
	ds_write_b128 v157, v[76:79] offset:6000
	ds_write_b128 v157, v[72:75] offset:7200
	ds_write_b128 v157, v[68:71] offset:8400
	ds_write_b128 v157, v[80:83] offset:9600
	ds_write_b128 v157, v[4:7] offset:10800
	;; [unrolled: 10-line block ×3, first 2 shown]
	s_waitcnt lgkmcnt(0)
	s_barrier
	ds_read_b128 v[20:23], v189
	ds_read_b128 v[116:119], v189 offset:12000
	ds_read_b128 v[112:115], v189 offset:24000
	;; [unrolled: 1-line block ×29, first 2 shown]
	v_accvgpr_read_b32 v121, a13
	v_accvgpr_read_b32 v120, a12
	s_waitcnt lgkmcnt(14)
	v_mul_f64 v[156:157], v[122:123], v[118:119]
	v_fmac_f64_e32 v[156:157], v[120:121], v[116:117]
	v_mul_f64 v[116:117], v[122:123], v[116:117]
	v_fma_f64 v[214:215], v[120:121], v[118:119], -v[116:117]
	v_accvgpr_read_b32 v119, a11
	v_accvgpr_read_b32 v118, a10
	;; [unrolled: 1-line block ×4, first 2 shown]
	v_mul_f64 v[186:187], v[118:119], v[114:115]
	v_fmac_f64_e32 v[186:187], v[116:117], v[112:113]
	v_mul_f64 v[112:113], v[118:119], v[112:113]
	v_fma_f64 v[216:217], v[116:117], v[114:115], -v[112:113]
	v_accvgpr_read_b32 v115, a7
	v_accvgpr_read_b32 v114, a6
	;; [unrolled: 1-line block ×4, first 2 shown]
	v_mul_f64 v[218:219], v[114:115], v[110:111]
	v_fmac_f64_e32 v[218:219], v[112:113], v[108:109]
	v_mul_f64 v[108:109], v[114:115], v[108:109]
	v_fma_f64 v[220:221], v[112:113], v[110:111], -v[108:109]
	v_accvgpr_read_b32 v111, a3
	s_waitcnt lgkmcnt(0)
	v_mul_f64 v[130:131], v[164:165], v[26:27]
	v_accvgpr_read_b32 v110, a2
	v_fmac_f64_e32 v[130:131], v[162:163], v[24:25]
	v_mul_f64 v[24:25], v[164:165], v[24:25]
	v_accvgpr_read_b32 v109, a1
	v_accvgpr_read_b32 v108, a0
	v_mul_f64 v[222:223], v[110:111], v[106:107]
	v_fma_f64 v[126:127], v[162:163], v[26:27], -v[24:25]
	v_add_f64 v[24:25], v[20:21], v[156:157]
	v_fmac_f64_e32 v[222:223], v[108:109], v[104:105]
	v_mul_f64 v[104:105], v[110:111], v[104:105]
	v_mul_f64 v[110:111], v[140:141], v[38:39]
	v_add_f64 v[24:25], v[24:25], v[186:187]
	v_fmac_f64_e32 v[110:111], v[138:139], v[36:37]
	v_mul_f64 v[36:37], v[140:141], v[36:37]
	v_add_f64 v[24:25], v[24:25], v[218:219]
	v_fma_f64 v[224:225], v[108:109], v[106:107], -v[104:105]
	v_fma_f64 v[120:121], v[138:139], v[38:39], -v[36:37]
	v_mul_f64 v[118:119], v[144:145], v[34:35]
	v_mul_f64 v[128:129], v[160:161], v[30:31]
	v_add_f64 v[36:37], v[24:25], v[222:223]
	v_add_f64 v[24:25], v[186:187], v[218:219]
	v_fmac_f64_e32 v[118:119], v[142:143], v[32:33]
	v_mul_f64 v[32:33], v[144:145], v[32:33]
	v_fmac_f64_e32 v[128:129], v[158:159], v[28:29]
	v_mul_f64 v[28:29], v[160:161], v[28:29]
	v_fma_f64 v[24:25], -0.5, v[24:25], v[20:21]
	v_add_f64 v[26:27], v[214:215], -v[224:225]
	v_fma_f64 v[122:123], v[142:143], v[34:35], -v[32:33]
	v_fma_f64 v[124:125], v[158:159], v[30:31], -v[28:29]
	v_fma_f64 v[28:29], s[14:15], v[26:27], v[24:25]
	v_add_f64 v[30:31], v[216:217], -v[220:221]
	v_add_f64 v[32:33], v[156:157], -v[186:187]
	;; [unrolled: 1-line block ×3, first 2 shown]
	v_fmac_f64_e32 v[24:25], s[2:3], v[26:27]
	v_fmac_f64_e32 v[28:29], s[8:9], v[30:31]
	v_add_f64 v[32:33], v[32:33], v[34:35]
	v_fmac_f64_e32 v[24:25], s[6:7], v[30:31]
	v_fmac_f64_e32 v[28:29], s[4:5], v[32:33]
	;; [unrolled: 1-line block ×3, first 2 shown]
	v_add_f64 v[32:33], v[156:157], v[222:223]
	v_fmac_f64_e32 v[20:21], -0.5, v[32:33]
	v_fma_f64 v[32:33], s[2:3], v[30:31], v[20:21]
	v_fmac_f64_e32 v[20:21], s[14:15], v[30:31]
	v_fmac_f64_e32 v[32:33], s[8:9], v[26:27]
	;; [unrolled: 1-line block ×3, first 2 shown]
	v_add_f64 v[26:27], v[22:23], v[214:215]
	v_add_f64 v[26:27], v[26:27], v[216:217]
	v_mul_f64 v[116:117], v[180:181], v[42:43]
	v_add_f64 v[34:35], v[186:187], -v[156:157]
	v_add_f64 v[38:39], v[218:219], -v[222:223]
	v_add_f64 v[26:27], v[26:27], v[220:221]
	v_mul_f64 v[114:115], v[176:177], v[46:47]
	v_fmac_f64_e32 v[116:117], v[178:179], v[40:41]
	v_mul_f64 v[40:41], v[180:181], v[40:41]
	v_add_f64 v[34:35], v[34:35], v[38:39]
	v_add_f64 v[38:39], v[26:27], v[224:225]
	;; [unrolled: 1-line block ×3, first 2 shown]
	v_fmac_f64_e32 v[114:115], v[174:175], v[44:45]
	v_mul_f64 v[44:45], v[176:177], v[44:45]
	v_fma_f64 v[112:113], v[178:179], v[42:43], -v[40:41]
	v_fma_f64 v[26:27], -0.5, v[26:27], v[22:23]
	v_add_f64 v[40:41], v[156:157], -v[222:223]
	v_fma_f64 v[108:109], v[174:175], v[46:47], -v[44:45]
	v_fmac_f64_e32 v[32:33], s[4:5], v[34:35]
	v_fmac_f64_e32 v[20:21], s[4:5], v[34:35]
	v_fma_f64 v[30:31], s[2:3], v[40:41], v[26:27]
	v_add_f64 v[42:43], v[186:187], -v[218:219]
	v_add_f64 v[34:35], v[214:215], -v[216:217]
	v_add_f64 v[44:45], v[224:225], -v[220:221]
	v_fmac_f64_e32 v[26:27], s[14:15], v[40:41]
	v_fmac_f64_e32 v[30:31], s[6:7], v[42:43]
	v_add_f64 v[34:35], v[34:35], v[44:45]
	v_fmac_f64_e32 v[26:27], s[8:9], v[42:43]
	v_mul_f64 v[154:155], v[210:211], v[102:103]
	v_fmac_f64_e32 v[30:31], s[4:5], v[34:35]
	v_fmac_f64_e32 v[26:27], s[4:5], v[34:35]
	v_add_f64 v[34:35], v[214:215], v[224:225]
	v_fmac_f64_e32 v[154:155], v[208:209], v[100:101]
	v_mul_f64 v[100:101], v[210:211], v[100:101]
	v_fmac_f64_e32 v[22:23], -0.5, v[34:35]
	v_fma_f64 v[146:147], v[208:209], v[102:103], -v[100:101]
	v_mul_f64 v[208:209], v[246:247], v[98:99]
	v_fma_f64 v[34:35], s[14:15], v[42:43], v[22:23]
	v_fmac_f64_e32 v[22:23], s[2:3], v[42:43]
	v_fmac_f64_e32 v[208:209], v[244:245], v[96:97]
	v_mul_f64 v[210:211], v[250:251], v[94:95]
	v_fmac_f64_e32 v[34:35], s[6:7], v[40:41]
	v_fmac_f64_e32 v[22:23], s[8:9], v[40:41]
	v_add_f64 v[40:41], v[16:17], v[154:155]
	v_fmac_f64_e32 v[210:211], v[248:249], v[92:93]
	v_mul_f64 v[212:213], v[254:255], v[90:91]
	v_add_f64 v[44:45], v[216:217], -v[214:215]
	v_add_f64 v[46:47], v[220:221], -v[224:225]
	v_add_f64 v[40:41], v[40:41], v[208:209]
	v_mul_f64 v[92:93], v[250:251], v[92:93]
	v_fmac_f64_e32 v[212:213], v[252:253], v[88:89]
	v_mul_f64 v[88:89], v[254:255], v[88:89]
	v_add_f64 v[44:45], v[44:45], v[46:47]
	v_add_f64 v[40:41], v[40:41], v[210:211]
	v_mul_f64 v[96:97], v[246:247], v[96:97]
	v_fma_f64 v[150:151], v[248:249], v[94:95], -v[92:93]
	v_fma_f64 v[152:153], v[252:253], v[90:91], -v[88:89]
	v_mul_f64 v[94:95], v[168:169], v[54:55]
	v_mul_f64 v[102:103], v[172:173], v[50:51]
	v_fmac_f64_e32 v[34:35], s[4:5], v[44:45]
	v_fmac_f64_e32 v[22:23], s[4:5], v[44:45]
	v_add_f64 v[44:45], v[40:41], v[212:213]
	v_add_f64 v[40:41], v[208:209], v[210:211]
	v_fma_f64 v[148:149], v[244:245], v[98:99], -v[96:97]
	v_fmac_f64_e32 v[94:95], v[166:167], v[52:53]
	v_mul_f64 v[52:53], v[168:169], v[52:53]
	v_fmac_f64_e32 v[102:103], v[170:171], v[48:49]
	v_mul_f64 v[48:49], v[172:173], v[48:49]
	v_fma_f64 v[40:41], -0.5, v[40:41], v[16:17]
	v_add_f64 v[42:43], v[146:147], -v[152:153]
	v_fma_f64 v[104:105], v[166:167], v[54:55], -v[52:53]
	v_fma_f64 v[106:107], v[170:171], v[50:51], -v[48:49]
	v_fma_f64 v[48:49], s[14:15], v[42:43], v[40:41]
	v_add_f64 v[46:47], v[148:149], -v[150:151]
	v_add_f64 v[50:51], v[154:155], -v[208:209]
	;; [unrolled: 1-line block ×3, first 2 shown]
	v_fmac_f64_e32 v[40:41], s[2:3], v[42:43]
	v_fmac_f64_e32 v[48:49], s[8:9], v[46:47]
	v_add_f64 v[50:51], v[50:51], v[52:53]
	v_fmac_f64_e32 v[40:41], s[6:7], v[46:47]
	v_fmac_f64_e32 v[48:49], s[4:5], v[50:51]
	;; [unrolled: 1-line block ×3, first 2 shown]
	v_add_f64 v[50:51], v[154:155], v[212:213]
	v_fmac_f64_e32 v[16:17], -0.5, v[50:51]
	v_fma_f64 v[52:53], s[2:3], v[46:47], v[16:17]
	v_fmac_f64_e32 v[16:17], s[14:15], v[46:47]
	v_fmac_f64_e32 v[52:53], s[8:9], v[42:43]
	;; [unrolled: 1-line block ×3, first 2 shown]
	v_add_f64 v[42:43], v[18:19], v[146:147]
	v_add_f64 v[42:43], v[42:43], v[148:149]
	v_mul_f64 v[100:101], v[200:201], v[58:59]
	v_add_f64 v[42:43], v[42:43], v[150:151]
	v_mul_f64 v[98:99], v[196:197], v[62:63]
	v_fmac_f64_e32 v[100:101], v[198:199], v[56:57]
	v_mul_f64 v[56:57], v[200:201], v[56:57]
	v_add_f64 v[50:51], v[208:209], -v[154:155]
	v_add_f64 v[54:55], v[210:211], -v[212:213]
	v_add_f64 v[46:47], v[42:43], v[152:153]
	v_add_f64 v[42:43], v[148:149], v[150:151]
	v_fmac_f64_e32 v[98:99], v[194:195], v[60:61]
	v_mul_f64 v[60:61], v[196:197], v[60:61]
	v_fma_f64 v[96:97], v[198:199], v[58:59], -v[56:57]
	v_add_f64 v[50:51], v[50:51], v[54:55]
	v_fma_f64 v[42:43], -0.5, v[42:43], v[18:19]
	v_add_f64 v[56:57], v[154:155], -v[212:213]
	v_fma_f64 v[92:93], v[194:195], v[62:63], -v[60:61]
	v_fmac_f64_e32 v[52:53], s[4:5], v[50:51]
	v_fmac_f64_e32 v[16:17], s[4:5], v[50:51]
	v_fma_f64 v[50:51], s[2:3], v[56:57], v[42:43]
	v_add_f64 v[58:59], v[208:209], -v[210:211]
	v_add_f64 v[54:55], v[146:147], -v[148:149]
	v_add_f64 v[60:61], v[152:153], -v[150:151]
	v_fmac_f64_e32 v[42:43], s[14:15], v[56:57]
	v_fmac_f64_e32 v[50:51], s[6:7], v[58:59]
	v_add_f64 v[54:55], v[54:55], v[60:61]
	v_fmac_f64_e32 v[42:43], s[8:9], v[58:59]
	v_fmac_f64_e32 v[50:51], s[4:5], v[54:55]
	;; [unrolled: 1-line block ×3, first 2 shown]
	v_add_f64 v[54:55], v[146:147], v[152:153]
	v_mul_f64 v[132:133], v[204:205], v[86:87]
	v_fmac_f64_e32 v[18:19], -0.5, v[54:55]
	v_fmac_f64_e32 v[132:133], v[202:203], v[84:85]
	v_mul_f64 v[134:135], v[234:235], v[82:83]
	v_mul_f64 v[136:137], v[238:239], v[78:79]
	v_fma_f64 v[54:55], s[14:15], v[58:59], v[18:19]
	v_fmac_f64_e32 v[18:19], s[2:3], v[58:59]
	v_fmac_f64_e32 v[134:135], v[232:233], v[80:81]
	;; [unrolled: 1-line block ×3, first 2 shown]
	v_mul_f64 v[76:77], v[238:239], v[76:77]
	v_fmac_f64_e32 v[54:55], s[6:7], v[56:57]
	v_fmac_f64_e32 v[18:19], s[8:9], v[56:57]
	v_add_f64 v[56:57], v[12:13], v[132:133]
	v_fma_f64 v[76:77], v[236:237], v[78:79], -v[76:77]
	v_mul_f64 v[78:79], v[242:243], v[74:75]
	v_add_f64 v[60:61], v[148:149], -v[146:147]
	v_add_f64 v[62:63], v[150:151], -v[152:153]
	v_add_f64 v[56:57], v[56:57], v[134:135]
	v_mul_f64 v[84:85], v[204:205], v[84:85]
	v_mul_f64 v[80:81], v[234:235], v[80:81]
	v_fmac_f64_e32 v[78:79], v[240:241], v[72:73]
	v_mul_f64 v[72:73], v[242:243], v[72:73]
	v_add_f64 v[60:61], v[60:61], v[62:63]
	v_add_f64 v[56:57], v[56:57], v[136:137]
	v_fma_f64 v[84:85], v[202:203], v[86:87], -v[84:85]
	v_fma_f64 v[80:81], v[232:233], v[82:83], -v[80:81]
	;; [unrolled: 1-line block ×3, first 2 shown]
	v_mul_f64 v[82:83], v[184:185], v[70:71]
	v_mul_f64 v[86:87], v[192:193], v[66:67]
	v_fmac_f64_e32 v[54:55], s[4:5], v[60:61]
	v_fmac_f64_e32 v[18:19], s[4:5], v[60:61]
	v_add_f64 v[60:61], v[56:57], v[78:79]
	v_add_f64 v[56:57], v[134:135], v[136:137]
	v_fmac_f64_e32 v[82:83], v[182:183], v[68:69]
	v_mul_f64 v[68:69], v[184:185], v[68:69]
	v_fmac_f64_e32 v[86:87], v[190:191], v[64:65]
	v_mul_f64 v[64:65], v[192:193], v[64:65]
	v_fma_f64 v[56:57], -0.5, v[56:57], v[12:13]
	v_add_f64 v[58:59], v[84:85], -v[72:73]
	v_fma_f64 v[88:89], v[182:183], v[70:71], -v[68:69]
	v_fma_f64 v[90:91], v[190:191], v[66:67], -v[64:65]
	v_fma_f64 v[64:65], s[14:15], v[58:59], v[56:57]
	v_add_f64 v[62:63], v[80:81], -v[76:77]
	v_add_f64 v[66:67], v[132:133], -v[134:135]
	v_add_f64 v[68:69], v[78:79], -v[136:137]
	v_fmac_f64_e32 v[56:57], s[2:3], v[58:59]
	v_fmac_f64_e32 v[64:65], s[8:9], v[62:63]
	v_add_f64 v[66:67], v[66:67], v[68:69]
	v_fmac_f64_e32 v[56:57], s[6:7], v[62:63]
	v_fmac_f64_e32 v[64:65], s[4:5], v[66:67]
	v_fmac_f64_e32 v[56:57], s[4:5], v[66:67]
	v_add_f64 v[66:67], v[132:133], v[78:79]
	v_fmac_f64_e32 v[12:13], -0.5, v[66:67]
	v_fma_f64 v[68:69], s[2:3], v[62:63], v[12:13]
	v_fmac_f64_e32 v[12:13], s[14:15], v[62:63]
	v_fmac_f64_e32 v[68:69], s[8:9], v[58:59]
	v_fmac_f64_e32 v[12:13], s[6:7], v[58:59]
	v_add_f64 v[58:59], v[14:15], v[84:85]
	v_add_f64 v[58:59], v[58:59], v[80:81]
	v_add_f64 v[58:59], v[58:59], v[76:77]
	v_add_f64 v[66:67], v[134:135], -v[132:133]
	v_add_f64 v[70:71], v[136:137], -v[78:79]
	v_add_f64 v[62:63], v[58:59], v[72:73]
	v_add_f64 v[58:59], v[80:81], v[76:77]
	v_add_f64 v[66:67], v[66:67], v[70:71]
	v_fma_f64 v[58:59], -0.5, v[58:59], v[14:15]
	v_add_f64 v[74:75], v[132:133], -v[78:79]
	v_fmac_f64_e32 v[68:69], s[4:5], v[66:67]
	v_fmac_f64_e32 v[12:13], s[4:5], v[66:67]
	v_fma_f64 v[66:67], s[2:3], v[74:75], v[58:59]
	v_add_f64 v[78:79], v[134:135], -v[136:137]
	v_add_f64 v[70:71], v[84:85], -v[80:81]
	v_add_f64 v[132:133], v[72:73], -v[76:77]
	v_fmac_f64_e32 v[58:59], s[14:15], v[74:75]
	v_fmac_f64_e32 v[66:67], s[6:7], v[78:79]
	v_add_f64 v[70:71], v[70:71], v[132:133]
	v_fmac_f64_e32 v[58:59], s[8:9], v[78:79]
	v_fmac_f64_e32 v[66:67], s[4:5], v[70:71]
	v_fmac_f64_e32 v[58:59], s[4:5], v[70:71]
	v_add_f64 v[70:71], v[84:85], v[72:73]
	v_fmac_f64_e32 v[14:15], -0.5, v[70:71]
	v_fma_f64 v[70:71], s[14:15], v[78:79], v[14:15]
	v_add_f64 v[80:81], v[80:81], -v[84:85]
	v_add_f64 v[72:73], v[76:77], -v[72:73]
	v_fmac_f64_e32 v[14:15], s[2:3], v[78:79]
	v_fmac_f64_e32 v[70:71], s[6:7], v[74:75]
	v_add_f64 v[72:73], v[80:81], v[72:73]
	v_fmac_f64_e32 v[14:15], s[8:9], v[74:75]
	v_fmac_f64_e32 v[70:71], s[4:5], v[72:73]
	v_fmac_f64_e32 v[14:15], s[4:5], v[72:73]
	v_add_f64 v[72:73], v[8:9], v[82:83]
	v_add_f64 v[72:73], v[72:73], v[86:87]
	v_add_f64 v[72:73], v[72:73], v[98:99]
	v_add_f64 v[76:77], v[72:73], v[100:101]
	v_add_f64 v[72:73], v[86:87], v[98:99]
	v_fma_f64 v[72:73], -0.5, v[72:73], v[8:9]
	v_add_f64 v[74:75], v[88:89], -v[96:97]
	v_fma_f64 v[80:81], s[14:15], v[74:75], v[72:73]
	v_add_f64 v[78:79], v[90:91], -v[92:93]
	v_add_f64 v[84:85], v[82:83], -v[86:87]
	v_add_f64 v[132:133], v[100:101], -v[98:99]
	v_fmac_f64_e32 v[72:73], s[2:3], v[74:75]
	v_fmac_f64_e32 v[80:81], s[8:9], v[78:79]
	v_add_f64 v[84:85], v[84:85], v[132:133]
	v_fmac_f64_e32 v[72:73], s[6:7], v[78:79]
	v_fmac_f64_e32 v[80:81], s[4:5], v[84:85]
	v_fmac_f64_e32 v[72:73], s[4:5], v[84:85]
	v_add_f64 v[84:85], v[82:83], v[100:101]
	v_fmac_f64_e32 v[8:9], -0.5, v[84:85]
	v_fma_f64 v[84:85], s[2:3], v[78:79], v[8:9]
	v_fmac_f64_e32 v[8:9], s[14:15], v[78:79]
	v_fmac_f64_e32 v[84:85], s[8:9], v[74:75]
	v_fmac_f64_e32 v[8:9], s[6:7], v[74:75]
	v_add_f64 v[74:75], v[10:11], v[88:89]
	v_add_f64 v[74:75], v[74:75], v[90:91]
	v_add_f64 v[74:75], v[74:75], v[92:93]
	v_add_f64 v[132:133], v[86:87], -v[82:83]
	v_add_f64 v[134:135], v[98:99], -v[100:101]
	v_add_f64 v[78:79], v[74:75], v[96:97]
	v_add_f64 v[74:75], v[90:91], v[92:93]
	v_add_f64 v[132:133], v[132:133], v[134:135]
	v_fma_f64 v[74:75], -0.5, v[74:75], v[10:11]
	v_add_f64 v[100:101], v[82:83], -v[100:101]
	v_fmac_f64_e32 v[84:85], s[4:5], v[132:133]
	v_fmac_f64_e32 v[8:9], s[4:5], v[132:133]
	v_fma_f64 v[82:83], s[2:3], v[100:101], v[74:75]
	v_add_f64 v[98:99], v[86:87], -v[98:99]
	v_add_f64 v[86:87], v[88:89], -v[90:91]
	v_add_f64 v[132:133], v[96:97], -v[92:93]
	v_fmac_f64_e32 v[74:75], s[14:15], v[100:101]
	v_fmac_f64_e32 v[82:83], s[6:7], v[98:99]
	v_add_f64 v[86:87], v[86:87], v[132:133]
	v_fmac_f64_e32 v[74:75], s[8:9], v[98:99]
	v_fmac_f64_e32 v[82:83], s[4:5], v[86:87]
	v_fmac_f64_e32 v[74:75], s[4:5], v[86:87]
	v_add_f64 v[86:87], v[88:89], v[96:97]
	v_fmac_f64_e32 v[10:11], -0.5, v[86:87]
	v_fma_f64 v[86:87], s[14:15], v[98:99], v[10:11]
	v_add_f64 v[88:89], v[90:91], -v[88:89]
	v_add_f64 v[90:91], v[92:93], -v[96:97]
	v_fmac_f64_e32 v[10:11], s[2:3], v[98:99]
	v_fmac_f64_e32 v[86:87], s[6:7], v[100:101]
	v_add_f64 v[88:89], v[88:89], v[90:91]
	v_fmac_f64_e32 v[10:11], s[8:9], v[100:101]
	v_fmac_f64_e32 v[86:87], s[4:5], v[88:89]
	v_fmac_f64_e32 v[10:11], s[4:5], v[88:89]
	v_add_f64 v[88:89], v[4:5], v[94:95]
	v_add_f64 v[88:89], v[88:89], v[102:103]
	v_add_f64 v[88:89], v[88:89], v[114:115]
	v_add_f64 v[96:97], v[88:89], v[116:117]
	v_add_f64 v[88:89], v[102:103], v[114:115]
	v_fma_f64 v[88:89], -0.5, v[88:89], v[4:5]
	v_add_f64 v[90:91], v[104:105], -v[112:113]
	;; [unrolled: 56-line block ×3, first 2 shown]
	v_fma_f64 v[108:109], s[14:15], v[106:107], v[104:105]
	v_add_f64 v[114:115], v[122:123], -v[124:125]
	v_add_f64 v[116:117], v[110:111], -v[118:119]
	;; [unrolled: 1-line block ×3, first 2 shown]
	v_fmac_f64_e32 v[104:105], s[2:3], v[106:107]
	v_fmac_f64_e32 v[108:109], s[8:9], v[114:115]
	v_add_f64 v[116:117], v[116:117], v[132:133]
	v_fmac_f64_e32 v[104:105], s[6:7], v[114:115]
	v_fmac_f64_e32 v[108:109], s[4:5], v[116:117]
	;; [unrolled: 1-line block ×3, first 2 shown]
	v_add_f64 v[116:117], v[110:111], v[130:131]
	v_fmac_f64_e32 v[0:1], -0.5, v[116:117]
	v_fma_f64 v[116:117], s[2:3], v[114:115], v[0:1]
	v_fmac_f64_e32 v[0:1], s[14:15], v[114:115]
	v_fmac_f64_e32 v[116:117], s[8:9], v[106:107]
	;; [unrolled: 1-line block ×3, first 2 shown]
	v_add_f64 v[106:107], v[2:3], v[120:121]
	v_add_f64 v[106:107], v[106:107], v[122:123]
	;; [unrolled: 1-line block ×3, first 2 shown]
	v_add_f64 v[132:133], v[118:119], -v[110:111]
	v_add_f64 v[134:135], v[128:129], -v[130:131]
	v_add_f64 v[114:115], v[106:107], v[126:127]
	v_add_f64 v[106:107], v[122:123], v[124:125]
	;; [unrolled: 1-line block ×3, first 2 shown]
	v_fma_f64 v[106:107], -0.5, v[106:107], v[2:3]
	v_add_f64 v[130:131], v[110:111], -v[130:131]
	v_fmac_f64_e32 v[116:117], s[4:5], v[132:133]
	v_fmac_f64_e32 v[0:1], s[4:5], v[132:133]
	v_fma_f64 v[110:111], s[2:3], v[130:131], v[106:107]
	v_add_f64 v[128:129], v[118:119], -v[128:129]
	v_add_f64 v[118:119], v[120:121], -v[122:123]
	;; [unrolled: 1-line block ×3, first 2 shown]
	v_fmac_f64_e32 v[106:107], s[14:15], v[130:131]
	v_fmac_f64_e32 v[110:111], s[6:7], v[128:129]
	v_add_f64 v[118:119], v[118:119], v[132:133]
	v_fmac_f64_e32 v[106:107], s[8:9], v[128:129]
	v_fmac_f64_e32 v[110:111], s[4:5], v[118:119]
	;; [unrolled: 1-line block ×3, first 2 shown]
	v_add_f64 v[118:119], v[120:121], v[126:127]
	v_fmac_f64_e32 v[2:3], -0.5, v[118:119]
	v_fma_f64 v[118:119], s[14:15], v[128:129], v[2:3]
	v_add_f64 v[120:121], v[122:123], -v[120:121]
	v_add_f64 v[122:123], v[124:125], -v[126:127]
	v_fmac_f64_e32 v[2:3], s[2:3], v[128:129]
	v_add_f64 v[120:121], v[120:121], v[122:123]
	v_fmac_f64_e32 v[2:3], s[8:9], v[130:131]
	v_fmac_f64_e32 v[118:119], s[6:7], v[130:131]
	;; [unrolled: 1-line block ×4, first 2 shown]
	ds_write_b128 v189, v[36:39]
	ds_write_b128 v189, v[28:31] offset:12000
	ds_write_b128 v189, v[32:35] offset:24000
	;; [unrolled: 1-line block ×29, first 2 shown]
	s_waitcnt lgkmcnt(0)
	s_barrier
	ds_read_b128 v[0:3], v189
	buffer_load_dword v6, off, s[28:31], 0 offset:40 ; 4-byte Folded Reload
	buffer_load_dword v7, off, s[28:31], 0 offset:44 ; 4-byte Folded Reload
	v_accvgpr_read_b32 v8, a27              ;  Reload Reuse
	s_mov_b32 s2, 0x9cbd821e
	s_mov_b32 s3, 0x3f3179ec
	s_waitcnt vmcnt(0)
	v_accvgpr_read_b32 v9, a26              ;  Reload Reuse
	s_waitcnt lgkmcnt(0)
	v_mul_f64 v[4:5], v[8:9], v[2:3]
	v_fmac_f64_e32 v[4:5], v[6:7], v[0:1]
	v_mul_f64 v[0:1], v[8:9], v[0:1]
	v_fma_f64 v[0:1], v[6:7], v[2:3], -v[0:1]
	v_mul_f64 v[6:7], v[0:1], s[2:3]
	v_mad_u64_u32 v[0:1], s[4:5], s0, v207, 0
	v_mov_b32_e32 v2, v1
	v_mad_u64_u32 v[2:3], s[4:5], s1, v207, v[2:3]
	v_mov_b32_e32 v1, v2
	v_accvgpr_read_b32 v2, a232
	v_accvgpr_read_b32 v3, a233
	v_lshlrev_b64 v[2:3], 4, v[2:3]
	v_add_co_u32_e32 v2, vcc, s12, v2
	v_mov_b32_e32 v8, s13
	v_addc_co_u32_e32 v3, vcc, v8, v3, vcc
	v_lshlrev_b64 v[0:1], 4, v[0:1]
	v_add_co_u32_e32 v8, vcc, v2, v0
	v_mul_f64 v[4:5], v[4:5], s[2:3]
	v_addc_co_u32_e32 v9, vcc, v3, v1, vcc
	global_store_dwordx4 v[8:9], v[4:7], off
	ds_read_b128 v[0:3], v189 offset:20000
	buffer_load_dword v10, off, s[28:31], 0 offset:56 ; 4-byte Folded Reload
	buffer_load_dword v11, off, s[28:31], 0 offset:60 ; 4-byte Folded Reload
	;; [unrolled: 1-line block ×4, first 2 shown]
	v_mad_u64_u32 v[8:9], s[4:5], s0, v188, v[8:9]
	s_mul_i32 s4, s1, 0x4e20
	v_add_u32_e32 v9, s4, v9
	s_mul_i32 s1, s1, 0xffff6b90
	s_sub_i32 s1, s1, s0
	s_waitcnt vmcnt(0) lgkmcnt(0)
	v_mul_f64 v[4:5], v[12:13], v[2:3]
	v_fmac_f64_e32 v[4:5], v[10:11], v[0:1]
	v_mul_f64 v[0:1], v[12:13], v[0:1]
	v_fma_f64 v[0:1], v[10:11], v[2:3], -v[0:1]
	v_mul_f64 v[4:5], v[4:5], s[2:3]
	v_mul_f64 v[6:7], v[0:1], s[2:3]
	global_store_dwordx4 v[8:9], v[4:7], off
	ds_read_b128 v[0:3], v189 offset:40000
	buffer_load_dword v10, off, s[28:31], 0 offset:72 ; 4-byte Folded Reload
	buffer_load_dword v11, off, s[28:31], 0 offset:76 ; 4-byte Folded Reload
	;; [unrolled: 1-line block ×4, first 2 shown]
	v_mad_u64_u32 v[8:9], s[6:7], s0, v188, v[8:9]
	v_add_u32_e32 v9, s4, v9
	s_waitcnt vmcnt(0) lgkmcnt(0)
	v_mul_f64 v[4:5], v[12:13], v[2:3]
	v_fmac_f64_e32 v[4:5], v[10:11], v[0:1]
	v_mul_f64 v[0:1], v[12:13], v[0:1]
	v_fma_f64 v[0:1], v[10:11], v[2:3], -v[0:1]
	v_mul_f64 v[4:5], v[4:5], s[2:3]
	v_mul_f64 v[6:7], v[0:1], s[2:3]
	global_store_dwordx4 v[8:9], v[4:7], off
	ds_read_b128 v[0:3], v189 offset:2000
	buffer_load_dword v10, off, s[28:31], 0 offset:88 ; 4-byte Folded Reload
	buffer_load_dword v11, off, s[28:31], 0 offset:92 ; 4-byte Folded Reload
	;; [unrolled: 1-line block ×4, first 2 shown]
	s_waitcnt vmcnt(0) lgkmcnt(0)
	v_mul_f64 v[4:5], v[12:13], v[2:3]
	v_fmac_f64_e32 v[4:5], v[10:11], v[0:1]
	v_mul_f64 v[0:1], v[12:13], v[0:1]
	v_fma_f64 v[0:1], v[10:11], v[2:3], -v[0:1]
	v_mov_b32_e32 v10, 0xffff6b90
	v_mad_u64_u32 v[8:9], s[6:7], s0, v10, v[8:9]
	v_mul_f64 v[4:5], v[4:5], s[2:3]
	v_mul_f64 v[6:7], v[0:1], s[2:3]
	v_add_u32_e32 v9, s1, v9
	global_store_dwordx4 v[8:9], v[4:7], off
	ds_read_b128 v[0:3], v189 offset:22000
	buffer_load_dword v12, off, s[28:31], 0 offset:104 ; 4-byte Folded Reload
	buffer_load_dword v13, off, s[28:31], 0 offset:108 ; 4-byte Folded Reload
	;; [unrolled: 1-line block ×4, first 2 shown]
	v_mad_u64_u32 v[8:9], s[6:7], s0, v188, v[8:9]
	v_add_u32_e32 v9, s4, v9
	s_waitcnt vmcnt(0) lgkmcnt(0)
	v_mul_f64 v[4:5], v[14:15], v[2:3]
	v_fmac_f64_e32 v[4:5], v[12:13], v[0:1]
	v_mul_f64 v[0:1], v[14:15], v[0:1]
	v_fma_f64 v[0:1], v[12:13], v[2:3], -v[0:1]
	v_mul_f64 v[4:5], v[4:5], s[2:3]
	v_mul_f64 v[6:7], v[0:1], s[2:3]
	global_store_dwordx4 v[8:9], v[4:7], off
	ds_read_b128 v[0:3], v189 offset:42000
	buffer_load_dword v12, off, s[28:31], 0 offset:120 ; 4-byte Folded Reload
	buffer_load_dword v13, off, s[28:31], 0 offset:124 ; 4-byte Folded Reload
	;; [unrolled: 1-line block ×4, first 2 shown]
	v_mad_u64_u32 v[8:9], s[6:7], s0, v188, v[8:9]
	v_add_u32_e32 v9, s4, v9
	s_waitcnt vmcnt(0) lgkmcnt(0)
	v_mul_f64 v[4:5], v[14:15], v[2:3]
	v_fmac_f64_e32 v[4:5], v[12:13], v[0:1]
	v_mul_f64 v[0:1], v[14:15], v[0:1]
	v_fma_f64 v[0:1], v[12:13], v[2:3], -v[0:1]
	v_mul_f64 v[4:5], v[4:5], s[2:3]
	v_mul_f64 v[6:7], v[0:1], s[2:3]
	global_store_dwordx4 v[8:9], v[4:7], off
	ds_read_b128 v[0:3], v189 offset:4000
	buffer_load_dword v12, off, s[28:31], 0 offset:136 ; 4-byte Folded Reload
	buffer_load_dword v13, off, s[28:31], 0 offset:140 ; 4-byte Folded Reload
	;; [unrolled: 1-line block ×4, first 2 shown]
	v_mad_u64_u32 v[8:9], s[6:7], s0, v10, v[8:9]
	v_add_u32_e32 v9, s1, v9
	v_mov_b32_e32 v10, 0xffff6b90
	s_waitcnt vmcnt(0) lgkmcnt(0)
	v_mul_f64 v[4:5], v[14:15], v[2:3]
	v_fmac_f64_e32 v[4:5], v[12:13], v[0:1]
	v_mul_f64 v[0:1], v[14:15], v[0:1]
	v_fma_f64 v[0:1], v[12:13], v[2:3], -v[0:1]
	v_mul_f64 v[4:5], v[4:5], s[2:3]
	v_mul_f64 v[6:7], v[0:1], s[2:3]
	global_store_dwordx4 v[8:9], v[4:7], off
	ds_read_b128 v[0:3], v189 offset:24000
	buffer_load_dword v12, off, s[28:31], 0 offset:152 ; 4-byte Folded Reload
	buffer_load_dword v13, off, s[28:31], 0 offset:156 ; 4-byte Folded Reload
	buffer_load_dword v14, off, s[28:31], 0 offset:160 ; 4-byte Folded Reload
	buffer_load_dword v15, off, s[28:31], 0 offset:164 ; 4-byte Folded Reload
	v_mad_u64_u32 v[8:9], s[6:7], s0, v188, v[8:9]
	v_add_u32_e32 v9, s4, v9
	s_waitcnt vmcnt(0) lgkmcnt(0)
	v_mul_f64 v[4:5], v[14:15], v[2:3]
	v_fmac_f64_e32 v[4:5], v[12:13], v[0:1]
	v_mul_f64 v[0:1], v[14:15], v[0:1]
	v_fma_f64 v[0:1], v[12:13], v[2:3], -v[0:1]
	v_mul_f64 v[4:5], v[4:5], s[2:3]
	v_mul_f64 v[6:7], v[0:1], s[2:3]
	global_store_dwordx4 v[8:9], v[4:7], off
	ds_read_b128 v[0:3], v189 offset:44000
	buffer_load_dword v12, off, s[28:31], 0 offset:184 ; 4-byte Folded Reload
	buffer_load_dword v13, off, s[28:31], 0 offset:188 ; 4-byte Folded Reload
	buffer_load_dword v14, off, s[28:31], 0 offset:192 ; 4-byte Folded Reload
	buffer_load_dword v15, off, s[28:31], 0 offset:196 ; 4-byte Folded Reload
	v_mad_u64_u32 v[8:9], s[6:7], s0, v188, v[8:9]
	v_add_u32_e32 v9, s4, v9
	;; [unrolled: 15-line block ×20, first 2 shown]
	v_mad_u64_u32 v[10:11], s[6:7], s0, v10, v[8:9]
	v_add_u32_e32 v11, s1, v11
	s_waitcnt vmcnt(0) lgkmcnt(0)
	v_mul_f64 v[4:5], v[14:15], v[2:3]
	v_fmac_f64_e32 v[4:5], v[12:13], v[0:1]
	v_mul_f64 v[0:1], v[14:15], v[0:1]
	v_fma_f64 v[0:1], v[12:13], v[2:3], -v[0:1]
	v_mul_f64 v[4:5], v[4:5], s[2:3]
	v_mul_f64 v[6:7], v[0:1], s[2:3]
	global_store_dwordx4 v[8:9], v[4:7], off
	ds_read_b128 v[0:3], v189 offset:18000
	buffer_load_dword v12, off, s[28:31], 0 offset:380 ; 4-byte Folded Reload
	buffer_load_dword v13, off, s[28:31], 0 offset:384 ; 4-byte Folded Reload
	buffer_load_dword v14, off, s[28:31], 0 offset:388 ; 4-byte Folded Reload
	buffer_load_dword v15, off, s[28:31], 0 offset:392 ; 4-byte Folded Reload
	s_waitcnt vmcnt(0) lgkmcnt(0)
	v_mul_f64 v[4:5], v[14:15], v[2:3]
	v_fmac_f64_e32 v[4:5], v[12:13], v[0:1]
	v_mul_f64 v[0:1], v[14:15], v[0:1]
	v_fma_f64 v[0:1], v[12:13], v[2:3], -v[0:1]
	v_mul_f64 v[4:5], v[4:5], s[2:3]
	v_mul_f64 v[6:7], v[0:1], s[2:3]
	global_store_dwordx4 v[10:11], v[4:7], off
	ds_read_b128 v[0:3], v189 offset:38000
	buffer_load_dword v12, off, s[28:31], 0 offset:524 ; 4-byte Folded Reload
	buffer_load_dword v13, off, s[28:31], 0 offset:528 ; 4-byte Folded Reload
	;; [unrolled: 1-line block ×4, first 2 shown]
	s_waitcnt vmcnt(0) lgkmcnt(0)
	v_mul_f64 v[4:5], v[14:15], v[2:3]
	v_fmac_f64_e32 v[4:5], v[12:13], v[0:1]
	v_mul_f64 v[0:1], v[14:15], v[0:1]
	v_mul_f64 v[6:7], v[4:5], s[2:3]
	v_fma_f64 v[0:1], v[12:13], v[2:3], -v[0:1]
	v_mad_u64_u32 v[4:5], s[6:7], s0, v188, v[10:11]
	v_mul_f64 v[8:9], v[0:1], s[2:3]
	v_add_u32_e32 v5, s4, v5
	global_store_dwordx4 v[4:5], v[6:9], off
	ds_read_b128 v[0:3], v189 offset:58000
	buffer_load_dword v8, off, s[28:31], 0 offset:168 ; 4-byte Folded Reload
	buffer_load_dword v9, off, s[28:31], 0 offset:172 ; 4-byte Folded Reload
	;; [unrolled: 1-line block ×4, first 2 shown]
	s_waitcnt vmcnt(0) lgkmcnt(0)
	v_mul_f64 v[6:7], v[10:11], v[2:3]
	v_fmac_f64_e32 v[6:7], v[8:9], v[0:1]
	v_mul_f64 v[0:1], v[10:11], v[0:1]
	v_fma_f64 v[0:1], v[8:9], v[2:3], -v[0:1]
	v_mul_f64 v[8:9], v[0:1], s[2:3]
	v_mad_u64_u32 v[0:1], s[0:1], s0, v188, v[4:5]
	v_mul_f64 v[6:7], v[6:7], s[2:3]
	v_add_u32_e32 v1, s4, v1
	global_store_dwordx4 v[0:1], v[6:9], off
.LBB0_2:
	s_endpgm
	.section	.rodata,"a",@progbits
	.p2align	6, 0x0
	.amdhsa_kernel bluestein_single_fwd_len3750_dim1_dp_op_CI_CI
		.amdhsa_group_segment_fixed_size 60000
		.amdhsa_private_segment_fixed_size 816
		.amdhsa_kernarg_size 104
		.amdhsa_user_sgpr_count 6
		.amdhsa_user_sgpr_private_segment_buffer 1
		.amdhsa_user_sgpr_dispatch_ptr 0
		.amdhsa_user_sgpr_queue_ptr 0
		.amdhsa_user_sgpr_kernarg_segment_ptr 1
		.amdhsa_user_sgpr_dispatch_id 0
		.amdhsa_user_sgpr_flat_scratch_init 0
		.amdhsa_user_sgpr_kernarg_preload_length 0
		.amdhsa_user_sgpr_kernarg_preload_offset 0
		.amdhsa_user_sgpr_private_segment_size 0
		.amdhsa_uses_dynamic_stack 0
		.amdhsa_system_sgpr_private_segment_wavefront_offset 1
		.amdhsa_system_sgpr_workgroup_id_x 1
		.amdhsa_system_sgpr_workgroup_id_y 0
		.amdhsa_system_sgpr_workgroup_id_z 0
		.amdhsa_system_sgpr_workgroup_info 0
		.amdhsa_system_vgpr_workitem_id 0
		.amdhsa_next_free_vgpr 512
		.amdhsa_next_free_sgpr 32
		.amdhsa_accum_offset 256
		.amdhsa_reserve_vcc 1
		.amdhsa_reserve_flat_scratch 0
		.amdhsa_float_round_mode_32 0
		.amdhsa_float_round_mode_16_64 0
		.amdhsa_float_denorm_mode_32 3
		.amdhsa_float_denorm_mode_16_64 3
		.amdhsa_dx10_clamp 1
		.amdhsa_ieee_mode 1
		.amdhsa_fp16_overflow 0
		.amdhsa_tg_split 0
		.amdhsa_exception_fp_ieee_invalid_op 0
		.amdhsa_exception_fp_denorm_src 0
		.amdhsa_exception_fp_ieee_div_zero 0
		.amdhsa_exception_fp_ieee_overflow 0
		.amdhsa_exception_fp_ieee_underflow 0
		.amdhsa_exception_fp_ieee_inexact 0
		.amdhsa_exception_int_div_zero 0
	.end_amdhsa_kernel
	.text
.Lfunc_end0:
	.size	bluestein_single_fwd_len3750_dim1_dp_op_CI_CI, .Lfunc_end0-bluestein_single_fwd_len3750_dim1_dp_op_CI_CI
                                        ; -- End function
	.section	.AMDGPU.csdata,"",@progbits
; Kernel info:
; codeLenInByte = 48496
; NumSgprs: 36
; NumVgprs: 256
; NumAgprs: 256
; TotalNumVgprs: 512
; ScratchSize: 816
; MemoryBound: 0
; FloatMode: 240
; IeeeMode: 1
; LDSByteSize: 60000 bytes/workgroup (compile time only)
; SGPRBlocks: 4
; VGPRBlocks: 63
; NumSGPRsForWavesPerEU: 36
; NumVGPRsForWavesPerEU: 512
; AccumOffset: 256
; Occupancy: 1
; WaveLimiterHint : 1
; COMPUTE_PGM_RSRC2:SCRATCH_EN: 1
; COMPUTE_PGM_RSRC2:USER_SGPR: 6
; COMPUTE_PGM_RSRC2:TRAP_HANDLER: 0
; COMPUTE_PGM_RSRC2:TGID_X_EN: 1
; COMPUTE_PGM_RSRC2:TGID_Y_EN: 0
; COMPUTE_PGM_RSRC2:TGID_Z_EN: 0
; COMPUTE_PGM_RSRC2:TIDIG_COMP_CNT: 0
; COMPUTE_PGM_RSRC3_GFX90A:ACCUM_OFFSET: 63
; COMPUTE_PGM_RSRC3_GFX90A:TG_SPLIT: 0
	.text
	.p2alignl 6, 3212836864
	.fill 256, 4, 3212836864
	.type	__hip_cuid_dd1bbfdff6cdbeb,@object ; @__hip_cuid_dd1bbfdff6cdbeb
	.section	.bss,"aw",@nobits
	.globl	__hip_cuid_dd1bbfdff6cdbeb
__hip_cuid_dd1bbfdff6cdbeb:
	.byte	0                               ; 0x0
	.size	__hip_cuid_dd1bbfdff6cdbeb, 1

	.ident	"AMD clang version 19.0.0git (https://github.com/RadeonOpenCompute/llvm-project roc-6.4.0 25133 c7fe45cf4b819c5991fe208aaa96edf142730f1d)"
	.section	".note.GNU-stack","",@progbits
	.addrsig
	.addrsig_sym __hip_cuid_dd1bbfdff6cdbeb
	.amdgpu_metadata
---
amdhsa.kernels:
  - .agpr_count:     256
    .args:
      - .actual_access:  read_only
        .address_space:  global
        .offset:         0
        .size:           8
        .value_kind:     global_buffer
      - .actual_access:  read_only
        .address_space:  global
        .offset:         8
        .size:           8
        .value_kind:     global_buffer
      - .actual_access:  read_only
        .address_space:  global
        .offset:         16
        .size:           8
        .value_kind:     global_buffer
      - .actual_access:  read_only
        .address_space:  global
        .offset:         24
        .size:           8
        .value_kind:     global_buffer
      - .actual_access:  read_only
        .address_space:  global
        .offset:         32
        .size:           8
        .value_kind:     global_buffer
      - .offset:         40
        .size:           8
        .value_kind:     by_value
      - .address_space:  global
        .offset:         48
        .size:           8
        .value_kind:     global_buffer
      - .address_space:  global
        .offset:         56
        .size:           8
        .value_kind:     global_buffer
      - .address_space:  global
        .offset:         64
        .size:           8
        .value_kind:     global_buffer
      - .address_space:  global
        .offset:         72
        .size:           8
        .value_kind:     global_buffer
      - .offset:         80
        .size:           4
        .value_kind:     by_value
      - .address_space:  global
        .offset:         88
        .size:           8
        .value_kind:     global_buffer
      - .address_space:  global
        .offset:         96
        .size:           8
        .value_kind:     global_buffer
    .group_segment_fixed_size: 60000
    .kernarg_segment_align: 8
    .kernarg_segment_size: 104
    .language:       OpenCL C
    .language_version:
      - 2
      - 0
    .max_flat_workgroup_size: 125
    .name:           bluestein_single_fwd_len3750_dim1_dp_op_CI_CI
    .private_segment_fixed_size: 816
    .sgpr_count:     36
    .sgpr_spill_count: 0
    .symbol:         bluestein_single_fwd_len3750_dim1_dp_op_CI_CI.kd
    .uniform_work_group_size: 1
    .uses_dynamic_stack: false
    .vgpr_count:     512
    .vgpr_spill_count: 203
    .wavefront_size: 64
amdhsa.target:   amdgcn-amd-amdhsa--gfx90a
amdhsa.version:
  - 1
  - 2
...

	.end_amdgpu_metadata
